;; amdgpu-corpus repo=ROCm/rocFFT kind=compiled arch=gfx1030 opt=O3
	.text
	.amdgcn_target "amdgcn-amd-amdhsa--gfx1030"
	.amdhsa_code_object_version 6
	.protected	bluestein_single_back_len1428_dim1_sp_op_CI_CI ; -- Begin function bluestein_single_back_len1428_dim1_sp_op_CI_CI
	.globl	bluestein_single_back_len1428_dim1_sp_op_CI_CI
	.p2align	8
	.type	bluestein_single_back_len1428_dim1_sp_op_CI_CI,@function
bluestein_single_back_len1428_dim1_sp_op_CI_CI: ; @bluestein_single_back_len1428_dim1_sp_op_CI_CI
; %bb.0:
	s_load_dwordx4 s[0:3], s[4:5], 0x28
	v_mul_u32_u24_e32 v1, 0x227, v0
	v_mov_b32_e32 v73, 0
	v_lshrrev_b32_e32 v1, 16, v1
	v_add_nc_u32_e32 v72, s6, v1
	s_waitcnt lgkmcnt(0)
	v_cmp_gt_u64_e32 vcc_lo, s[0:1], v[72:73]
	s_and_saveexec_b32 s0, vcc_lo
	s_cbranch_execz .LBB0_23
; %bb.1:
	s_clause 0x1
	s_load_dwordx2 s[12:13], s[4:5], 0x0
	s_load_dwordx2 s[14:15], s[4:5], 0x38
	v_mul_lo_u16 v1, 0x77, v1
	v_sub_nc_u16 v0, v0, v1
	v_and_b32_e32 v96, 0xffff, v0
	v_cmp_gt_u16_e32 vcc_lo, 0x54, v0
	v_lshlrev_b32_e32 v95, 3, v96
	s_and_saveexec_b32 s1, vcc_lo
	s_cbranch_execz .LBB0_3
; %bb.2:
	s_load_dwordx2 s[6:7], s[4:5], 0x18
	s_waitcnt lgkmcnt(0)
	v_add_co_u32 v22, s0, s12, v95
	v_add_co_ci_u32_e64 v23, null, s13, 0, s0
	v_add_nc_u32_e32 v70, 0x800, v95
	v_add_co_u32 v12, s0, 0x800, v22
	v_add_co_ci_u32_e64 v13, s0, 0, v23, s0
	v_add_co_u32 v14, s0, 0x1000, v22
	v_add_co_ci_u32_e64 v15, s0, 0, v23, s0
	v_add_nc_u32_e32 v71, 0xc00, v95
	v_add_nc_u32_e32 v73, 0x1000, v95
	;; [unrolled: 1-line block ×5, first 2 shown]
	s_load_dwordx4 s[8:11], s[6:7], 0x0
	s_clause 0x3
	global_load_dwordx2 v[0:1], v95, s[12:13]
	global_load_dwordx2 v[2:3], v95, s[12:13] offset:672
	global_load_dwordx2 v[4:5], v95, s[12:13] offset:1344
	;; [unrolled: 1-line block ×3, first 2 shown]
	s_waitcnt lgkmcnt(0)
	v_mad_u64_u32 v[6:7], null, s10, v72, 0
	v_mad_u64_u32 v[10:11], null, s8, v96, 0
	s_mul_i32 s6, s9, 0x2a0
	s_mul_hi_u32 s7, s8, 0x2a0
	s_add_i32 s7, s7, s6
	v_mad_u64_u32 v[19:20], null, s9, v96, v[11:12]
	s_clause 0x5
	global_load_dwordx2 v[24:25], v[12:13], off offset:640
	global_load_dwordx2 v[26:27], v[12:13], off offset:1312
	;; [unrolled: 1-line block ×6, first 2 shown]
	v_mov_b32_e32 v11, v19
	v_lshlrev_b64 v[10:11], 3, v[10:11]
	s_waitcnt vmcnt(6)
	v_mad_u64_u32 v[16:17], null, s11, v72, v[7:8]
	v_add_co_u32 v17, s0, 0x1800, v22
	v_add_co_ci_u32_e64 v18, s0, 0, v23, s0
	v_add_co_u32 v20, s0, 0x2000, v22
	v_mov_b32_e32 v7, v16
	v_add_co_ci_u32_e64 v21, s0, 0, v23, s0
	v_add_co_u32 v22, s0, 0x2800, v22
	v_lshlrev_b64 v[6:7], 3, v[6:7]
	v_add_co_ci_u32_e64 v23, s0, 0, v23, s0
	s_clause 0x4
	global_load_dwordx2 v[34:35], v[17:18], off offset:576
	global_load_dwordx2 v[36:37], v[17:18], off offset:1248
	;; [unrolled: 1-line block ×5, first 2 shown]
	v_add_co_u32 v6, s0, s2, v6
	v_add_co_ci_u32_e64 v7, s0, s3, v7, s0
	s_mul_i32 s2, s8, 0x2a0
	v_add_co_u32 v6, s0, v6, v10
	v_add_co_ci_u32_e64 v7, s0, v7, v11, s0
	v_add_co_u32 v10, s0, v6, s2
	v_add_co_ci_u32_e64 v11, s0, s7, v7, s0
	;; [unrolled: 2-line block ×5, first 2 shown]
	s_clause 0x3
	global_load_dwordx2 v[6:7], v[6:7], off
	global_load_dwordx2 v[10:11], v[10:11], off
	;; [unrolled: 1-line block ×4, first 2 shown]
	v_add_co_u32 v44, s0, v42, s2
	v_add_co_ci_u32_e64 v45, s0, s7, v43, s0
	global_load_dwordx2 v[42:43], v[42:43], off
	v_add_co_u32 v46, s0, v44, s2
	v_add_co_ci_u32_e64 v47, s0, s7, v45, s0
	global_load_dwordx2 v[44:45], v[44:45], off
	;; [unrolled: 3-line block ×11, first 2 shown]
	v_add_co_u32 v66, s0, v64, s2
	v_add_co_ci_u32_e64 v67, s0, s7, v65, s0
	global_load_dwordx2 v[20:21], v[20:21], off offset:1888
	global_load_dwordx2 v[64:65], v[64:65], off
	global_load_dwordx2 v[22:23], v[22:23], off offset:512
	global_load_dwordx2 v[66:67], v[66:67], off
	s_waitcnt vmcnt(18)
	v_mul_f32_e32 v68, v7, v1
	v_mul_f32_e32 v1, v6, v1
	s_waitcnt vmcnt(17)
	v_mul_f32_e32 v76, v10, v3
	v_fmac_f32_e32 v68, v6, v0
	v_fma_f32 v69, v7, v0, -v1
	v_mul_f32_e32 v0, v11, v3
	s_waitcnt vmcnt(16)
	v_mul_f32_e32 v3, v33, v5
	v_mul_f32_e32 v6, v32, v5
	s_waitcnt vmcnt(15)
	v_mul_f32_e32 v5, v19, v9
	v_mul_f32_e32 v7, v18, v9
	v_fma_f32 v1, v11, v2, -v76
	v_fmac_f32_e32 v0, v10, v2
	v_fmac_f32_e32 v3, v32, v4
	v_fma_f32 v4, v33, v4, -v6
	v_fmac_f32_e32 v5, v18, v8
	v_fma_f32 v6, v19, v8, -v7
	s_waitcnt vmcnt(14)
	v_mul_f32_e32 v7, v42, v25
	v_mul_f32_e32 v2, v43, v25
	ds_write2_b64 v95, v[68:69], v[0:1] offset1:84
	s_waitcnt vmcnt(13)
	v_mul_f32_e32 v0, v45, v27
	v_mul_f32_e32 v1, v44, v27
	ds_write2_b64 v95, v[3:4], v[5:6] offset0:168 offset1:252
	v_fma_f32 v3, v43, v24, -v7
	s_waitcnt vmcnt(12)
	v_mul_f32_e32 v4, v47, v13
	v_mul_f32_e32 v5, v46, v13
	s_waitcnt vmcnt(11)
	v_mul_f32_e32 v6, v49, v29
	v_mul_f32_e32 v7, v48, v29
	v_fmac_f32_e32 v2, v42, v24
	v_fmac_f32_e32 v0, v44, v26
	v_fma_f32 v1, v45, v26, -v1
	v_fmac_f32_e32 v4, v46, v12
	v_fma_f32 v5, v47, v12, -v5
	;; [unrolled: 2-line block ×3, first 2 shown]
	ds_write2_b64 v70, v[2:3], v[0:1] offset0:80 offset1:164
	s_waitcnt vmcnt(9)
	v_mul_f32_e32 v0, v53, v15
	v_mul_f32_e32 v1, v52, v15
	;; [unrolled: 1-line block ×3, first 2 shown]
	ds_write2_b64 v71, v[4:5], v[6:7] offset0:120 offset1:204
	v_mul_f32_e32 v9, v50, v31
	s_waitcnt vmcnt(8)
	v_mul_f32_e32 v2, v55, v35
	v_mul_f32_e32 v3, v54, v35
	s_waitcnt vmcnt(7)
	v_mul_f32_e32 v4, v57, v37
	v_mul_f32_e32 v5, v56, v37
	v_fmac_f32_e32 v0, v52, v14
	v_fma_f32 v1, v53, v14, -v1
	s_waitcnt vmcnt(6)
	v_mul_f32_e32 v6, v59, v17
	v_mul_f32_e32 v7, v58, v17
	v_fmac_f32_e32 v8, v50, v30
	v_fma_f32 v9, v51, v30, -v9
	v_fmac_f32_e32 v2, v54, v34
	s_waitcnt vmcnt(5)
	v_mul_f32_e32 v10, v61, v39
	v_mul_f32_e32 v11, v60, v39
	v_fmac_f32_e32 v6, v58, v16
	v_fma_f32 v7, v59, v16, -v7
	v_fma_f32 v3, v55, v34, -v3
	s_waitcnt vmcnt(4)
	v_mul_f32_e32 v12, v63, v41
	v_mul_f32_e32 v13, v62, v41
	v_fmac_f32_e32 v4, v56, v36
	s_waitcnt vmcnt(2)
	v_mul_f32_e32 v14, v65, v21
	v_mul_f32_e32 v15, v64, v21
	s_waitcnt vmcnt(0)
	v_mul_f32_e32 v16, v67, v23
	v_mul_f32_e32 v17, v66, v23
	v_fma_f32 v5, v57, v36, -v5
	v_fmac_f32_e32 v10, v60, v38
	v_fma_f32 v11, v61, v38, -v11
	v_fmac_f32_e32 v12, v62, v40
	;; [unrolled: 2-line block ×4, first 2 shown]
	v_fma_f32 v17, v67, v22, -v17
	ds_write2_b64 v73, v[8:9], v[0:1] offset0:160 offset1:244
	ds_write2_b64 v74, v[2:3], v[4:5] offset0:72 offset1:156
	;; [unrolled: 1-line block ×4, first 2 shown]
	ds_write_b64 v95, v[16:17] offset:10752
.LBB0_3:
	s_or_b32 exec_lo, exec_lo, s1
	s_clause 0x1
	s_load_dwordx2 s[0:1], s[4:5], 0x20
	s_load_dwordx2 s[2:3], s[4:5], 0x8
	v_mov_b32_e32 v4, 0
	v_mov_b32_e32 v5, 0
	s_waitcnt lgkmcnt(0)
	s_barrier
	buffer_gl0_inv
                                        ; implicit-def: $vgpr12
                                        ; implicit-def: $vgpr8
                                        ; implicit-def: $vgpr36
                                        ; implicit-def: $vgpr18
                                        ; implicit-def: $vgpr26
                                        ; implicit-def: $vgpr34
                                        ; implicit-def: $vgpr30
                                        ; implicit-def: $vgpr22
	s_and_saveexec_b32 s4, vcc_lo
	s_cbranch_execz .LBB0_5
; %bb.4:
	v_add_nc_u32_e32 v0, 0x800, v95
	v_add_nc_u32_e32 v1, 0xc00, v95
	;; [unrolled: 1-line block ×3, first 2 shown]
	ds_read2_b64 v[4:7], v95 offset1:84
	ds_read2_b64 v[20:23], v95 offset0:168 offset1:252
	v_add_nc_u32_e32 v3, 0x1c00, v95
	ds_read2_b64 v[28:31], v0 offset0:80 offset1:164
	v_add_nc_u32_e32 v0, 0x1800, v95
	v_add_nc_u32_e32 v8, 0x2000, v95
	ds_read2_b64 v[32:35], v1 offset0:120 offset1:204
	ds_read2_b64 v[24:27], v2 offset0:160 offset1:244
	;; [unrolled: 1-line block ×5, first 2 shown]
	ds_read_b64 v[36:37], v95 offset:10752
.LBB0_5:
	s_or_b32 exec_lo, exec_lo, s4
	s_waitcnt lgkmcnt(0)
	v_sub_f32_e32 v40, v7, v37
	v_add_f32_e32 v64, v36, v6
	v_sub_f32_e32 v70, v6, v36
	v_sub_f32_e32 v42, v21, v11
	v_add_f32_e32 v67, v37, v7
	v_mul_f32_e32 v45, 0xbeb8f4ab, v40
	v_add_f32_e32 v66, v10, v20
	v_sub_f32_e32 v89, v20, v10
	v_mul_f32_e32 v47, 0xbeb8f4ab, v70
	v_mul_f32_e32 v44, 0xbf2c7751, v42
	v_fmamk_f32 v0, v64, 0x3f6eb680, v45
	v_sub_f32_e32 v43, v23, v9
	v_add_f32_e32 v77, v11, v21
	v_mul_f32_e32 v46, 0xbf2c7751, v89
	v_fma_f32 v1, 0x3f6eb680, v67, -v47
	v_fmamk_f32 v2, v66, 0x3f3d2fb0, v44
	v_add_f32_e32 v0, v0, v4
	v_add_f32_e32 v81, v8, v22
	v_mul_f32_e32 v48, 0xbf65296c, v43
	v_sub_f32_e32 v98, v22, v8
	v_fma_f32 v3, 0x3f3d2fb0, v77, -v46
	v_add_f32_e32 v1, v1, v5
	v_add_f32_e32 v0, v2, v0
	;; [unrolled: 1-line block ×3, first 2 shown]
	v_sub_f32_e32 v132, v29, v15
	v_fmamk_f32 v2, v81, 0x3ee437d1, v48
	v_mul_f32_e32 v54, 0xbf65296c, v98
	v_sub_f32_e32 v102, v28, v14
	v_add_f32_e32 v1, v3, v1
	v_add_f32_e32 v85, v14, v28
	v_mul_f32_e32 v49, 0xbf7ee86f, v132
	v_add_f32_e32 v0, v2, v0
	v_fma_f32 v2, 0x3ee437d1, v83, -v54
	v_add_f32_e32 v87, v15, v29
	v_mul_f32_e32 v55, 0xbf7ee86f, v102
	v_sub_f32_e32 v139, v31, v13
	v_fmamk_f32 v3, v85, 0x3dbcf732, v49
	v_add_f32_e32 v1, v2, v1
	v_add_f32_e32 v92, v12, v30
	v_fma_f32 v2, 0x3dbcf732, v87, -v55
	v_mul_f32_e32 v56, 0xbf763a35, v139
	v_sub_f32_e32 v112, v30, v12
	v_sub_f32_e32 v142, v33, v19
	v_add_f32_e32 v0, v3, v0
	v_add_f32_e32 v1, v2, v1
	;; [unrolled: 1-line block ×3, first 2 shown]
	v_fmamk_f32 v2, v92, 0xbe8c1d8e, v56
	v_mul_f32_e32 v58, 0xbf763a35, v112
	v_add_f32_e32 v94, v18, v32
	v_mul_f32_e32 v57, 0xbf4c4adb, v142
	v_sub_f32_e32 v114, v32, v18
	v_sub_f32_e32 v144, v35, v17
	v_add_f32_e32 v0, v2, v0
	v_fma_f32 v2, 0xbe8c1d8e, v99, -v58
	v_add_f32_e32 v97, v19, v33
	v_fmamk_f32 v3, v94, 0xbf1a4643, v57
	v_mul_f32_e32 v60, 0xbf4c4adb, v114
	v_add_f32_e32 v100, v16, v34
	v_mul_f32_e32 v59, 0xbf06c442, v144
	v_sub_f32_e32 v117, v34, v16
	v_sub_f32_e32 v146, v25, v27
	v_add_f32_e32 v1, v2, v1
	v_add_f32_e32 v0, v3, v0
	v_fma_f32 v2, 0xbf1a4643, v97, -v60
	v_fmamk_f32 v3, v100, 0xbf59a7d5, v59
	v_add_f32_e32 v109, v17, v35
	v_mul_f32_e32 v62, 0xbf06c442, v117
	v_add_f32_e32 v101, v26, v24
	v_mul_f32_e32 v61, 0xbe3c28d5, v146
	v_mul_f32_e32 v71, 0xbf2c7751, v40
	v_add_f32_e32 v1, v2, v1
	v_add_f32_e32 v0, v3, v0
	v_fma_f32 v2, 0xbf59a7d5, v109, -v62
	v_fmamk_f32 v3, v101, 0xbf7ba420, v61
	v_fmamk_f32 v38, v64, 0x3f3d2fb0, v71
	v_mul_f32_e32 v75, 0xbf7ee86f, v42
	v_mul_f32_e32 v88, 0xbf2c7751, v70
	v_add_f32_e32 v1, v2, v1
	v_add_f32_e32 v73, v3, v0
	;; [unrolled: 1-line block ×3, first 2 shown]
	v_fmamk_f32 v2, v66, 0x3dbcf732, v75
	v_fma_f32 v3, 0x3f3d2fb0, v67, -v88
	v_mul_f32_e32 v91, 0xbf7ee86f, v89
	v_mul_f32_e32 v78, 0xbf4c4adb, v43
	;; [unrolled: 1-line block ×3, first 2 shown]
	v_add_f32_e32 v0, v2, v0
	v_add_f32_e32 v2, v3, v5
	v_fma_f32 v3, 0x3dbcf732, v77, -v91
	v_sub_f32_e32 v123, v24, v26
	v_fmamk_f32 v38, v81, 0xbf1a4643, v78
	v_mul_f32_e32 v79, 0xbe3c28d5, v132
	v_mul_f32_e32 v86, 0xbe3c28d5, v102
	v_add_f32_e32 v2, v3, v2
	v_fma_f32 v3, 0xbf1a4643, v83, -v84
	v_add_f32_e32 v113, v27, v25
	v_add_f32_e32 v0, v38, v0
	v_fmamk_f32 v38, v85, 0xbf7ba420, v79
	v_mul_f32_e32 v82, 0x3f06c442, v139
	v_mul_f32_e32 v63, 0xbe3c28d5, v123
	v_add_f32_e32 v2, v3, v2
	v_fma_f32 v3, 0xbf7ba420, v87, -v86
	v_mul_f32_e32 v90, 0x3f06c442, v112
	v_add_f32_e32 v0, v38, v0
	v_fmamk_f32 v38, v92, 0xbf59a7d5, v82
	v_mul_f32_e32 v65, 0x3f763a35, v142
	v_fma_f32 v39, 0xbf7ba420, v113, -v63
	v_add_f32_e32 v2, v3, v2
	v_fma_f32 v3, 0xbf59a7d5, v99, -v90
	v_mul_f32_e32 v108, 0xbf65296c, v40
	v_add_f32_e32 v0, v38, v0
	v_fmamk_f32 v38, v94, 0xbe8c1d8e, v65
	v_add_f32_e32 v74, v39, v1
	v_mul_f32_e32 v93, 0x3f763a35, v114
	v_add_f32_e32 v1, v3, v2
	v_fmamk_f32 v2, v64, 0x3ee437d1, v108
	v_mul_f32_e32 v110, 0xbf4c4adb, v42
	v_add_f32_e32 v0, v38, v0
	v_fma_f32 v3, 0xbe8c1d8e, v97, -v93
	v_mul_f32_e32 v68, 0x3f65296c, v144
	v_add_f32_e32 v2, v2, v4
	v_fmamk_f32 v38, v66, 0xbf1a4643, v110
	v_mul_f32_e32 v111, 0x3e3c28d5, v43
	v_add_f32_e32 v1, v3, v1
	v_fmamk_f32 v3, v100, 0x3ee437d1, v68
	;; [unrolled: 3-line block ×4, first 2 shown]
	v_mul_f32_e32 v115, 0xbf65296c, v70
	v_add_f32_e32 v2, v38, v2
	v_mul_f32_e32 v105, 0xbeb8f4ab, v142
	v_mul_f32_e32 v116, 0xbf4c4adb, v89
	;; [unrolled: 1-line block ×3, first 2 shown]
	v_fma_f32 v41, 0x3ee437d1, v67, -v115
	v_add_f32_e32 v2, v3, v2
	v_fmamk_f32 v3, v92, 0x3f3d2fb0, v103
	v_mul_f32_e32 v69, 0x3eb8f4ab, v146
	v_mul_f32_e32 v106, 0xbf7ee86f, v144
	v_add_f32_e32 v41, v41, v5
	v_fma_f32 v50, 0xbf1a4643, v77, -v116
	v_add_f32_e32 v2, v3, v2
	v_fmamk_f32 v3, v94, 0x3f6eb680, v105
	v_mul_f32_e32 v118, 0x3e3c28d5, v98
	v_fma_f32 v39, 0x3ee437d1, v109, -v76
	v_mul_f32_e32 v80, 0x3eb8f4ab, v123
	v_fmamk_f32 v38, v101, 0x3f6eb680, v69
	v_add_f32_e32 v3, v3, v2
	v_fmamk_f32 v51, v100, 0x3dbcf732, v106
	v_mul_f32_e32 v107, 0xbf06c442, v146
	v_add_f32_e32 v41, v50, v41
	v_fma_f32 v50, 0xbf7ba420, v83, -v118
	v_mul_f32_e32 v119, 0x3f763a35, v102
	v_add_f32_e32 v1, v39, v1
	v_fma_f32 v39, 0x3f6eb680, v113, -v80
	v_add_f32_e32 v2, v38, v0
	v_add_f32_e32 v0, v51, v3
	v_fmamk_f32 v38, v101, 0xbf59a7d5, v107
	v_add_f32_e32 v41, v50, v41
	v_fma_f32 v50, 0xbe8c1d8e, v87, -v119
	v_mul_f32_e32 v120, 0x3f2c7751, v112
	v_mul_f32_e32 v130, 0xbf7ee86f, v40
	v_add_f32_e32 v3, v39, v1
	v_add_f32_e32 v0, v38, v0
	;; [unrolled: 1-line block ×3, first 2 shown]
	v_fma_f32 v38, 0x3f3d2fb0, v99, -v120
	v_mul_f32_e32 v121, 0xbeb8f4ab, v114
	v_fmamk_f32 v39, v64, 0x3dbcf732, v130
	v_mul_f32_e32 v127, 0xbe3c28d5, v42
	v_mul_f32_e32 v136, 0xbf7ee86f, v70
	v_add_f32_e32 v1, v38, v1
	v_fma_f32 v38, 0x3f6eb680, v97, -v121
	v_add_f32_e32 v39, v39, v4
	v_fmamk_f32 v41, v66, 0xbf7ba420, v127
	v_fma_f32 v50, 0x3dbcf732, v67, -v136
	v_mul_f32_e32 v138, 0xbe3c28d5, v89
	v_mul_f32_e32 v125, 0x3f763a35, v43
	v_add_f32_e32 v1, v38, v1
	v_add_f32_e32 v38, v41, v39
	;; [unrolled: 1-line block ×3, first 2 shown]
	v_fma_f32 v41, 0xbf7ba420, v77, -v138
	v_fmamk_f32 v50, v81, 0xbe8c1d8e, v125
	v_mul_f32_e32 v137, 0x3f763a35, v98
	v_mul_f32_e32 v126, 0x3eb8f4ab, v132
	v_mul_f32_e32 v135, 0x3eb8f4ab, v102
	v_add_f32_e32 v39, v41, v39
	v_add_f32_e32 v38, v50, v38
	v_fma_f32 v41, 0xbe8c1d8e, v83, -v137
	v_fmamk_f32 v50, v85, 0x3f6eb680, v126
	v_mul_f32_e32 v128, 0xbf65296c, v139
	v_mul_f32_e32 v133, 0xbf65296c, v112
	v_mul_f32_e32 v131, 0xbf06c442, v142
	v_add_f32_e32 v39, v41, v39
	v_add_f32_e32 v38, v50, v38
	;; [unrolled: 7-line block ×4, first 2 shown]
	v_fma_f32 v41, 0xbf59a7d5, v97, -v134
	v_fmamk_f32 v50, v100, 0xbf1a4643, v129
	v_fmamk_f32 v52, v66, 0xbf59a7d5, v149
	v_fma_f32 v53, 0xbf59a7d5, v77, -v161
	v_mul_f32_e32 v150, 0x3f2c7751, v43
	v_add_f32_e32 v39, v41, v39
	v_add_f32_e32 v38, v50, v38
	v_fmamk_f32 v41, v64, 0xbe8c1d8e, v147
	v_fma_f32 v50, 0xbe8c1d8e, v67, -v158
	v_mul_f32_e32 v159, 0x3f2c7751, v98
	v_mul_f32_e32 v152, 0xbf65296c, v132
	;; [unrolled: 1-line block ×3, first 2 shown]
	v_add_f32_e32 v41, v41, v4
	v_add_f32_e32 v50, v50, v5
	v_mul_f32_e32 v151, 0xbe3c28d5, v139
	v_mul_f32_e32 v155, 0xbe3c28d5, v112
	;; [unrolled: 1-line block ×3, first 2 shown]
	v_add_f32_e32 v41, v52, v41
	v_add_f32_e32 v50, v53, v50
	v_fmamk_f32 v52, v81, 0x3f3d2fb0, v150
	v_fma_f32 v53, 0x3f3d2fb0, v83, -v159
	v_mul_f32_e32 v153, 0x3f7ee86f, v142
	v_mul_f32_e32 v156, 0x3f7ee86f, v114
	;; [unrolled: 1-line block ×3, first 2 shown]
	v_add_f32_e32 v41, v52, v41
	v_add_f32_e32 v50, v53, v50
	v_fmamk_f32 v52, v85, 0x3ee437d1, v152
	v_fma_f32 v53, 0x3ee437d1, v87, -v160
	v_fma_f32 v140, 0xbf1a4643, v109, -v141
	v_mul_f32_e32 v148, 0xbeb8f4ab, v144
	v_mul_f32_e32 v157, 0xbeb8f4ab, v117
	v_add_f32_e32 v41, v52, v41
	v_add_f32_e32 v50, v53, v50
	v_fmamk_f32 v52, v92, 0xbf7ba420, v151
	v_fma_f32 v53, 0xbf7ba420, v99, -v155
	v_fma_f32 v51, 0x3dbcf732, v109, -v122
	v_mul_f32_e32 v124, 0xbf06c442, v123
	v_add_f32_e32 v39, v140, v39
	v_add_f32_e32 v41, v52, v41
	;; [unrolled: 1-line block ×3, first 2 shown]
	v_fmamk_f32 v52, v94, 0x3dbcf732, v153
	v_fma_f32 v53, 0x3dbcf732, v97, -v156
	v_mul_f32_e32 v140, 0x3f2c7751, v146
	v_mul_f32_e32 v143, 0x3f2c7751, v123
	;; [unrolled: 1-line block ×3, first 2 shown]
	v_add_f32_e32 v41, v52, v41
	v_add_f32_e32 v50, v53, v50
	v_fmamk_f32 v52, v100, 0x3f6eb680, v148
	v_fma_f32 v53, 0x3f6eb680, v109, -v157
	v_mul_f32_e32 v154, 0xbf4c4adb, v123
	v_add_f32_e32 v1, v51, v1
	v_fma_f32 v51, 0xbf59a7d5, v113, -v124
	v_fmamk_f32 v162, v101, 0x3f3d2fb0, v140
	v_fma_f32 v163, 0x3f3d2fb0, v113, -v143
	v_add_f32_e32 v41, v52, v41
	v_add_f32_e32 v164, v53, v50
	v_fmamk_f32 v50, v101, 0xbf1a4643, v145
	v_fma_f32 v165, 0xbf1a4643, v113, -v154
	v_add_f32_e32 v1, v51, v1
	v_add_f32_e32 v52, v162, v38
	;; [unrolled: 1-line block ×5, first 2 shown]
	s_barrier
	buffer_gl0_inv
	s_and_saveexec_b32 s4, vcc_lo
	s_cbranch_execz .LBB0_7
; %bb.6:
	v_mul_f32_e32 v165, 0xbf1a4643, v67
	v_mul_f32_e32 v166, 0xbe8c1d8e, v77
	;; [unrolled: 1-line block ×5, first 2 shown]
	v_fmamk_f32 v38, v70, 0x3f4c4adb, v165
	v_fmamk_f32 v39, v89, 0xbf763a35, v166
	;; [unrolled: 1-line block ×3, first 2 shown]
	v_mul_f32_e32 v169, 0x3dbcf732, v99
	v_mul_f32_e32 v173, 0x3f763a35, v42
	v_add_f32_e32 v38, v38, v5
	v_fmamk_f32 v163, v64, 0xbf1a4643, v172
	v_mul_f32_e32 v170, 0x3f3d2fb0, v97
	v_mul_f32_e32 v174, 0xbeb8f4ab, v43
	v_fmamk_f32 v177, v66, 0xbe8c1d8e, v173
	v_add_f32_e32 v38, v39, v38
	v_fmamk_f32 v39, v102, 0x3f06c442, v168
	v_add_f32_e32 v163, v163, v4
	v_mul_f32_e32 v171, 0xbf7ba420, v109
	v_mul_f32_e32 v175, 0xbf06c442, v132
	v_add_f32_e32 v38, v41, v38
	v_fmamk_f32 v41, v112, 0xbf7ee86f, v169
	v_fmamk_f32 v179, v81, 0x3f6eb680, v174
	v_add_f32_e32 v163, v177, v163
	v_mul_f32_e32 v176, 0x3f7ee86f, v139
	v_add_f32_e32 v38, v39, v38
	v_fmamk_f32 v39, v114, 0x3f2c7751, v170
	v_fmamk_f32 v177, v85, 0xbf59a7d5, v175
	v_add_f32_e32 v163, v179, v163
	v_mul_f32_e32 v164, 0xbf59a7d5, v67
	v_add_f32_e32 v38, v41, v38
	v_fmamk_f32 v41, v117, 0x3e3c28d5, v171
	v_mul_f32_e32 v178, 0x3ee437d1, v77
	v_add_f32_e32 v163, v177, v163
	v_fmamk_f32 v180, v70, 0x3f06c442, v164
	v_add_f32_e32 v38, v39, v38
	v_mul_f32_e32 v179, 0x3dbcf732, v83
	v_fmamk_f32 v39, v89, 0xbf65296c, v178
	v_mul_f32_e32 v177, 0xbf2c7751, v142
	v_add_f32_e32 v180, v180, v5
	v_add_f32_e32 v38, v41, v38
	v_fmamk_f32 v41, v92, 0x3dbcf732, v176
	v_mul_f32_e32 v185, 0x3f65296c, v42
	v_mul_f32_e32 v181, 0xbf1a4643, v87
	v_add_f32_e32 v39, v39, v180
	v_fmamk_f32 v180, v98, 0x3f7ee86f, v179
	v_add_f32_e32 v41, v41, v163
	v_mul_f32_e32 v163, 0xbf06c442, v40
	v_fmamk_f32 v182, v94, 0x3f3d2fb0, v177
	v_mul_f32_e32 v183, 0xbe3c28d5, v144
	v_fmamk_f32 v187, v66, 0x3ee437d1, v185
	;; [unrolled: 2-line block ×3, first 2 shown]
	v_add_f32_e32 v39, v180, v39
	v_fmamk_f32 v180, v102, 0xbf4c4adb, v181
	v_mul_f32_e32 v186, 0x3f6eb680, v99
	v_add_f32_e32 v41, v182, v41
	v_add_f32_e32 v184, v184, v4
	v_fmamk_f32 v182, v100, 0xbf7ba420, v183
	v_mul_f32_e32 v190, 0x3f4c4adb, v132
	v_mul_f32_e32 v162, 0x3ee437d1, v113
	;; [unrolled: 1-line block ×3, first 2 shown]
	v_add_f32_e32 v184, v187, v184
	v_fmamk_f32 v187, v81, 0x3dbcf732, v188
	v_add_f32_e32 v39, v180, v39
	v_fmamk_f32 v180, v112, 0x3eb8f4ab, v186
	v_mul_f32_e32 v191, 0xbf7ba420, v97
	v_add_f32_e32 v41, v182, v41
	v_add_f32_e32 v182, v187, v184
	v_fmamk_f32 v184, v85, 0xbf1a4643, v190
	v_mul_f32_e32 v187, 0xbeb8f4ab, v139
	v_fmamk_f32 v192, v123, 0xbf65296c, v162
	v_fmamk_f32 v193, v101, 0x3ee437d1, v189
	v_add_f32_e32 v180, v180, v39
	v_fmamk_f32 v194, v114, 0x3e3c28d5, v191
	v_add_f32_e32 v182, v184, v182
	v_fmamk_f32 v184, v92, 0x3f6eb680, v187
	v_mul_f32_e32 v195, 0xbe3c28d5, v142
	v_mul_f32_e32 v196, 0x3f3d2fb0, v109
	v_add_f32_e32 v39, v192, v38
	v_add_f32_e32 v38, v193, v41
	;; [unrolled: 1-line block ×3, first 2 shown]
	v_fmamk_f32 v182, v94, 0xbf7ba420, v195
	v_mul_f32_e32 v184, 0x3f2c7751, v144
	v_add_f32_e32 v180, v194, v180
	v_fmamk_f32 v192, v117, 0xbf2c7751, v196
	v_mul_f32_e32 v193, 0xbe8c1d8e, v113
	v_add_f32_e32 v41, v182, v41
	;; [unrolled: 3-line block ×15, first 2 shown]
	v_fmamk_f32 v202, v92, 0xbf1a4643, v139
	v_mul_f32_e32 v142, 0x3f65296c, v142
	v_fmac_f32_e32 v194, 0xbe3c28d5, v70
	v_add_f32_e32 v42, v43, v42
	v_fmamk_f32 v43, v117, 0x3f763a35, v205
	v_add_f32_e32 v180, v202, v180
	v_fmamk_f32 v202, v94, 0x3ee437d1, v142
	v_mul_f32_e32 v144, 0xbf763a35, v144
	v_mul_f32_e32 v206, 0x3dbcf732, v113
	v_add_f32_e32 v194, v194, v5
	v_fmac_f32_e32 v199, 0x3eb8f4ab, v89
	v_fmac_f32_e32 v164, 0xbf06c442, v70
	v_add_f32_e32 v180, v202, v180
	v_fmamk_f32 v202, v100, 0xbe8c1d8e, v144
	v_add_f32_e32 v42, v43, v42
	v_fmamk_f32 v43, v123, 0xbf7ee86f, v206
	v_add_f32_e32 v194, v199, v194
	v_fmac_f32_e32 v201, 0xbf06c442, v98
	v_mul_f32_e32 v146, 0x3f7ee86f, v146
	v_fma_f32 v163, 0xbf59a7d5, v64, -v163
	v_add_f32_e32 v164, v164, v5
	v_fmac_f32_e32 v178, 0x3f65296c, v89
	v_add_f32_e32 v180, v202, v180
	v_add_f32_e32 v43, v43, v42
	;; [unrolled: 1-line block ×3, first 2 shown]
	v_fmac_f32_e32 v200, 0x3f2c7751, v102
	v_fmamk_f32 v194, v101, 0x3dbcf732, v146
	v_add_f32_e32 v163, v163, v4
	v_fma_f32 v185, 0x3ee437d1, v66, -v185
	v_add_f32_e32 v164, v178, v164
	v_fmac_f32_e32 v179, 0xbf7ee86f, v98
	v_add_f32_e32 v199, v200, v42
	v_fma_f32 v178, 0x3dbcf732, v81, -v188
	v_add_f32_e32 v163, v185, v163
	v_add_f32_e32 v42, v194, v180
	;; [unrolled: 1-line block ×3, first 2 shown]
	v_fmac_f32_e32 v181, 0x3f4c4adb, v102
	v_fma_f32 v180, 0xbf7ba420, v64, -v192
	v_add_f32_e32 v163, v178, v163
	v_fma_f32 v178, 0xbf1a4643, v85, -v190
	v_fma_f32 v185, 0xbf59a7d5, v81, -v203
	v_add_f32_e32 v164, v181, v164
	v_add_f32_e32 v180, v180, v4
	v_fma_f32 v181, 0x3f6eb680, v66, -v182
	v_add_f32_e32 v163, v178, v163
	v_fma_f32 v178, 0x3f6eb680, v92, -v187
	v_fmac_f32_e32 v165, 0xbf4c4adb, v70
	v_fma_f32 v132, 0x3f3d2fb0, v85, -v132
	v_add_f32_e32 v180, v181, v180
	v_fmac_f32_e32 v166, 0x3f763a35, v89
	v_add_f32_e32 v163, v178, v163
	v_fma_f32 v178, 0xbf7ba420, v94, -v195
	v_add_f32_e32 v165, v165, v5
	v_add_f32_e32 v180, v185, v180
	v_fmac_f32_e32 v186, 0xbeb8f4ab, v112
	v_fma_f32 v139, 0xbf1a4643, v92, -v139
	v_add_f32_e32 v163, v178, v163
	v_fma_f32 v178, 0x3f3d2fb0, v100, -v184
	v_add_f32_e32 v132, v132, v180
	v_add_f32_e32 v165, v166, v165
	v_fmac_f32_e32 v167, 0xbeb8f4ab, v98
	v_add_f32_e32 v164, v186, v164
	v_mul_f32_e32 v181, 0x3f6eb680, v64
	v_add_f32_e32 v163, v178, v163
	v_fma_f32 v178, 0xbe8c1d8e, v101, -v197
	v_mul_f32_e32 v184, 0x3f3d2fb0, v64
	v_mul_f32_e32 v186, 0x3ee437d1, v64
	;; [unrolled: 1-line block ×4, first 2 shown]
	v_add_f32_e32 v98, v139, v132
	v_fma_f32 v139, 0x3ee437d1, v94, -v142
	v_add_f32_e32 v142, v167, v165
	v_fmac_f32_e32 v168, 0xbf06c442, v102
	v_fma_f32 v64, 0xbf1a4643, v64, -v172
	v_fmac_f32_e32 v198, 0xbf4c4adb, v112
	v_mul_f32_e32 v182, 0x3f6eb680, v67
	v_add_f32_e32 v163, v178, v163
	v_mul_f32_e32 v178, 0x3f3d2fb0, v67
	v_mul_f32_e32 v187, 0x3ee437d1, v67
	;; [unrolled: 1-line block ×7, first 2 shown]
	v_add_f32_e32 v98, v139, v98
	v_mul_f32_e32 v139, 0xbf7ba420, v66
	v_fma_f32 v144, 0xbe8c1d8e, v100, -v144
	v_add_f32_e32 v142, v168, v142
	v_fmac_f32_e32 v169, 0x3f7ee86f, v112
	v_mul_f32_e32 v112, 0xbf59a7d5, v66
	v_fma_f32 v66, 0xbe8c1d8e, v66, -v173
	v_add_f32_e32 v64, v64, v4
	v_mul_f32_e32 v166, 0x3f3d2fb0, v77
	v_mul_f32_e32 v132, 0x3dbcf732, v77
	;; [unrolled: 1-line block ×5, first 2 shown]
	v_add_f32_e32 v144, v144, v98
	v_add_f32_e32 v98, v169, v142
	v_fmac_f32_e32 v170, 0xbf2c7751, v114
	v_add_f32_e32 v64, v66, v64
	v_fma_f32 v173, 0x3f6eb680, v81, -v174
	v_add_f32_e32 v67, v158, v67
	v_fmac_f32_e32 v204, 0x3f65296c, v114
	v_fmac_f32_e32 v191, 0xbe3c28d5, v114
	v_mul_f32_e32 v142, 0x3ee437d1, v83
	v_mul_f32_e32 v114, 0xbf1a4643, v83
	v_add_f32_e32 v98, v170, v98
	v_mul_f32_e32 v170, 0xbf7ba420, v83
	v_mul_f32_e32 v66, 0xbe8c1d8e, v83
	;; [unrolled: 1-line block ×3, first 2 shown]
	v_add_f32_e32 v64, v173, v64
	v_add_f32_e32 v77, v161, v77
	v_fma_f32 v174, 0xbf59a7d5, v85, -v175
	v_add_f32_e32 v67, v67, v5
	v_mul_f32_e32 v173, 0x3dbcf732, v87
	v_mul_f32_e32 v161, 0xbf7ba420, v87
	v_add_f32_e32 v83, v159, v83
	v_add_f32_e32 v64, v174, v64
	v_mul_f32_e32 v174, 0xbe8c1d8e, v87
	v_add_f32_e32 v67, v77, v67
	v_mul_f32_e32 v159, 0x3f6eb680, v87
	v_mul_f32_e32 v87, 0x3ee437d1, v87
	v_sub_f32_e32 v89, v89, v147
	v_fmac_f32_e32 v196, 0x3f2c7751, v117
	v_fmac_f32_e32 v205, 0xbf763a35, v117
	v_mul_f32_e32 v168, 0x3ee437d1, v81
	v_mul_f32_e32 v169, 0xbf1a4643, v81
	;; [unrolled: 1-line block ×3, first 2 shown]
	v_fmac_f32_e32 v171, 0xbe3c28d5, v117
	v_mul_f32_e32 v117, 0xbe8c1d8e, v81
	v_mul_f32_e32 v81, 0x3f3d2fb0, v81
	v_add_f32_e32 v67, v83, v67
	v_add_f32_e32 v87, v160, v87
	v_mul_f32_e32 v147, 0xbf7ba420, v99
	v_sub_f32_e32 v112, v112, v149
	v_add_f32_e32 v89, v89, v4
	v_fmac_f32_e32 v193, 0xbf763a35, v123
	v_add_f32_e32 v98, v171, v98
	v_mul_f32_e32 v171, 0x3dbcf732, v85
	v_mul_f32_e32 v158, 0xbf7ba420, v85
	v_fmac_f32_e32 v206, 0x3f7ee86f, v123
	v_fmac_f32_e32 v162, 0x3f65296c, v123
	v_mul_f32_e32 v123, 0xbe8c1d8e, v85
	v_mul_f32_e32 v77, 0x3f6eb680, v85
	v_fma_f32 v175, 0x3dbcf732, v92, -v176
	v_mul_f32_e32 v85, 0x3ee437d1, v85
	v_add_f32_e32 v67, v87, v67
	v_add_f32_e32 v147, v155, v147
	;; [unrolled: 1-line block ×3, first 2 shown]
	v_mul_f32_e32 v112, 0x3dbcf732, v97
	v_sub_f32_e32 v81, v81, v150
	v_add_f32_e32 v64, v175, v64
	v_mul_f32_e32 v175, 0xbe8c1d8e, v92
	v_fma_f32 v176, 0x3f3d2fb0, v94, -v177
	v_mul_f32_e32 v160, 0xbf59a7d5, v92
	v_mul_f32_e32 v87, 0x3f3d2fb0, v92
	;; [unrolled: 1-line block ×4, first 2 shown]
	v_add_f32_e32 v67, v147, v67
	v_add_f32_e32 v112, v156, v112
	;; [unrolled: 1-line block ×3, first 2 shown]
	v_mul_f32_e32 v89, 0x3f6eb680, v109
	v_sub_f32_e32 v85, v85, v152
	v_add_f32_e32 v64, v176, v64
	v_mul_f32_e32 v150, 0xbf1a4643, v94
	v_mul_f32_e32 v156, 0xbe8c1d8e, v94
	v_add_f32_e32 v67, v112, v67
	v_mul_f32_e32 v112, 0x3f6eb680, v94
	v_add_f32_e32 v89, v157, v89
	v_add_f32_e32 v81, v85, v81
	v_mul_f32_e32 v85, 0xbf59a7d5, v94
	v_fma_f32 v177, 0xbf7ba420, v100, -v183
	v_mul_f32_e32 v94, 0x3dbcf732, v94
	v_sub_f32_e32 v92, v92, v151
	v_mul_f32_e32 v151, 0xbf59a7d5, v100
	v_add_f32_e32 v67, v89, v67
	v_add_f32_e32 v177, v177, v64
	v_mul_f32_e32 v89, 0x3ee437d1, v100
	v_add_f32_e32 v64, v92, v81
	v_sub_f32_e32 v92, v94, v153
	v_mul_f32_e32 v94, 0x3dbcf732, v100
	v_add_f32_e32 v70, v136, v70
	v_mul_f32_e32 v153, 0xbf1a4643, v100
	v_mul_f32_e32 v100, 0x3f6eb680, v100
	v_add_f32_e32 v138, v138, v167
	v_add_f32_e32 v66, v137, v66
	;; [unrolled: 1-line block ×3, first 2 shown]
	v_sub_f32_e32 v130, v185, v130
	v_sub_f32_e32 v100, v100, v148
	v_mul_f32_e32 v148, 0xbf1a4643, v113
	v_mul_f32_e32 v83, 0xbe8c1d8e, v99
	v_add_f32_e32 v70, v138, v70
	v_mul_f32_e32 v176, 0xbf59a7d5, v99
	v_mul_f32_e32 v149, 0x3f3d2fb0, v99
	v_add_f32_e32 v148, v154, v148
	v_mul_f32_e32 v99, 0x3ee437d1, v99
	v_add_f32_e32 v70, v66, v70
	v_add_f32_e32 v66, v162, v98
	;; [unrolled: 1-line block ×5, first 2 shown]
	v_sub_f32_e32 v127, v139, v127
	v_add_f32_e32 v115, v115, v187
	v_mul_f32_e32 v147, 0xbf1a4643, v97
	v_mul_f32_e32 v152, 0xbe8c1d8e, v97
	;; [unrolled: 1-line block ×4, first 2 shown]
	v_add_f32_e32 v67, v67, v70
	v_add_f32_e32 v70, v133, v99
	;; [unrolled: 1-line block ×3, first 2 shown]
	v_sub_f32_e32 v117, v117, v125
	v_add_f32_e32 v115, v115, v5
	v_add_f32_e32 v102, v116, v102
	v_mul_f32_e32 v183, 0xbf59a7d5, v109
	v_mul_f32_e32 v81, 0x3ee437d1, v109
	;; [unrolled: 1-line block ×4, first 2 shown]
	v_add_f32_e32 v64, v92, v64
	v_mul_f32_e32 v92, 0xbf7ba420, v101
	v_mul_f32_e32 v137, 0x3f6eb680, v101
	;; [unrolled: 1-line block ×4, first 2 shown]
	v_fma_f32 v146, 0x3dbcf732, v101, -v146
	v_fma_f32 v189, 0x3ee437d1, v101, -v189
	v_mul_f32_e32 v101, 0xbf1a4643, v101
	v_add_f32_e32 v67, v70, v67
	v_add_f32_e32 v70, v134, v97
	v_add_f32_e32 v97, v117, v99
	v_sub_f32_e32 v77, v77, v126
	v_add_f32_e32 v99, v102, v115
	v_add_f32_e32 v102, v118, v170
	v_add_f32_e32 v100, v100, v64
	v_sub_f32_e32 v101, v101, v145
	;; [unrolled: 4-line block ×3, first 2 shown]
	v_add_f32_e32 v99, v102, v99
	v_add_f32_e32 v102, v119, v174
	v_mul_f32_e32 v138, 0xbf7ba420, v113
	v_mul_f32_e32 v154, 0x3f6eb680, v113
	;; [unrolled: 1-line block ×4, first 2 shown]
	v_add_f32_e32 v97, v101, v100
	v_add_f32_e32 v67, v70, v67
	;; [unrolled: 1-line block ×3, first 2 shown]
	v_sub_f32_e32 v77, v85, v131
	v_add_f32_e32 v85, v102, v99
	v_add_f32_e32 v99, v120, v149
	v_sub_f32_e32 v101, v186, v108
	v_add_f32_e32 v100, v143, v113
	v_add_f32_e32 v77, v77, v70
	;; [unrolled: 3-line block ×3, first 2 shown]
	v_add_f32_e32 v101, v101, v4
	v_sub_f32_e32 v108, v165, v110
	v_add_f32_e32 v70, v100, v67
	v_add_f32_e32 v67, v102, v77
	;; [unrolled: 1-line block ×5, first 2 shown]
	v_sub_f32_e32 v100, v172, v111
	v_add_f32_e32 v88, v88, v178
	v_add_f32_e32 v91, v91, v132
	;; [unrolled: 1-line block ×5, first 2 shown]
	v_sub_f32_e32 v100, v123, v104
	v_add_f32_e32 v88, v88, v5
	v_sub_f32_e32 v71, v184, v71
	v_add_f32_e32 v77, v85, v77
	;; [unrolled: 2-line block ×3, first 2 shown]
	v_add_f32_e32 v88, v91, v88
	v_add_f32_e32 v84, v84, v114
	;; [unrolled: 1-line block ×3, first 2 shown]
	v_sub_f32_e32 v75, v188, v75
	v_add_f32_e32 v85, v87, v85
	v_sub_f32_e32 v87, v112, v105
	v_add_f32_e32 v84, v84, v88
	v_add_f32_e32 v86, v86, v161
	;; [unrolled: 1-line block ×3, first 2 shown]
	v_sub_f32_e32 v75, v169, v78
	v_add_f32_e32 v78, v87, v85
	v_sub_f32_e32 v85, v94, v106
	v_add_f32_e32 v84, v86, v84
	v_add_f32_e32 v86, v90, v176
	;; [unrolled: 1-line block ×3, first 2 shown]
	v_sub_f32_e32 v75, v158, v79
	v_add_f32_e32 v7, v7, v5
	v_add_f32_e32 v6, v6, v4
	;; [unrolled: 1-line block ×6, first 2 shown]
	v_sub_f32_e32 v75, v160, v82
	v_add_f32_e32 v7, v21, v7
	v_add_f32_e32 v6, v20, v6
	v_add_f32_e32 v82, v85, v84
	v_add_f32_e32 v76, v76, v81
	v_add_f32_e32 v71, v75, v71
	v_sub_f32_e32 v20, v156, v65
	v_add_f32_e32 v7, v23, v7
	v_add_f32_e32 v6, v22, v6
	v_add_f32_e32 v21, v76, v82
	v_add_f32_e32 v65, v80, v154
	v_add_f32_e32 v20, v20, v71
	;; [unrolled: 6-line block ×3, first 2 shown]
	v_add_f32_e32 v7, v31, v7
	v_add_f32_e32 v22, v30, v23
	v_sub_f32_e32 v28, v181, v45
	v_add_f32_e32 v5, v21, v5
	v_add_f32_e32 v179, v198, v199
	;; [unrolled: 1-line block ×6, first 2 shown]
	v_sub_f32_e32 v28, v180, v44
	v_add_f32_e32 v7, v35, v7
	v_add_f32_e32 v21, v34, v21
	;; [unrolled: 1-line block ×7, first 2 shown]
	v_sub_f32_e32 v24, v168, v48
	v_add_f32_e32 v5, v22, v5
	v_add_f32_e32 v22, v55, v173
	v_add_f32_e32 v7, v27, v7
	v_add_f32_e32 v21, v26, v21
	v_add_f32_e32 v4, v24, v4
	v_sub_f32_e32 v24, v171, v49
	v_add_f32_e32 v5, v22, v5
	v_add_f32_e32 v7, v17, v7
	v_add_f32_e32 v16, v16, v21
	v_add_f32_e32 v17, v58, v83
	v_add_f32_e32 v4, v24, v4
	;; [unrolled: 6-line block ×3, first 2 shown]
	v_add_f32_e32 v7, v13, v7
	v_add_f32_e32 v12, v12, v16
	v_sub_f32_e32 v13, v150, v57
	v_add_f32_e32 v5, v17, v5
	v_add_f32_e32 v16, v62, v183
	;; [unrolled: 1-line block ×5, first 2 shown]
	v_sub_f32_e32 v13, v151, v59
	v_add_f32_e32 v164, v191, v164
	v_add_f32_e32 v7, v9, v7
	v_add_f32_e32 v8, v8, v12
	v_add_f32_e32 v179, v204, v179
	v_add_f32_e32 v5, v16, v5
	v_add_f32_e32 v9, v63, v138
	v_add_f32_e32 v4, v13, v4
	v_sub_f32_e32 v12, v92, v61
	v_add_f32_e32 v11, v11, v7
	v_add_f32_e32 v13, v10, v8
	v_mul_lo_u16 v14, v96, 17
	v_mov_b32_e32 v15, 3
	v_sub_f32_e32 v79, v167, v107
	v_sub_f32_e32 v23, v137, v69
	;; [unrolled: 1-line block ×3, first 2 shown]
	v_add_f32_e32 v164, v196, v164
	v_add_f32_e32 v179, v205, v179
	v_add_f32_e32 v8, v9, v5
	v_add_f32_e32 v7, v12, v4
	v_add_f32_e32 v10, v37, v11
	v_add_f32_e32 v9, v36, v13
	v_lshlrev_b32_sdwa v4, v15, v14 dst_sel:DWORD dst_unused:UNUSED_PAD src0_sel:DWORD src1_sel:WORD_0
	v_add_f32_e32 v76, v79, v78
	v_add_f32_e32 v5, v23, v20
	;; [unrolled: 1-line block ×7, first 2 shown]
	ds_write2_b64 v4, v[9:10], v[7:8] offset1:1
	ds_write2_b64 v4, v[5:6], v[76:77] offset0:2 offset1:3
	ds_write2_b64 v4, v[69:70], v[97:98] offset0:4 offset1:5
	;; [unrolled: 1-line block ×7, first 2 shown]
	ds_write_b64 v4, v[73:74] offset:128
.LBB0_7:
	s_or_b32 exec_lo, exec_lo, s4
	v_and_b32_e32 v4, 0xff, v96
	v_add_co_u32 v6, null, 0x1dc, v96
	v_mov_b32_e32 v7, 0xf0f1
	v_add_co_u32 v8, null, 0x253, v96
	v_mul_lo_u16 v4, 0xf1, v4
	v_add_co_u32 v13, null, 0xee, v96
	v_mul_u32_u24_sdwa v10, v6, v7 dst_sel:DWORD dst_unused:UNUSED_PAD src0_sel:WORD_0 src1_sel:DWORD
	v_mul_u32_u24_sdwa v11, v8, v7 dst_sel:DWORD dst_unused:UNUSED_PAD src0_sel:WORD_0 src1_sel:DWORD
	v_lshrrev_b16 v15, 12, v4
	v_add_nc_u16 v4, v96, 0x77
	v_mul_u32_u24_sdwa v14, v13, v7 dst_sel:DWORD dst_unused:UNUSED_PAD src0_sel:WORD_0 src1_sel:DWORD
	v_lshrrev_b32_e32 v28, 20, v10
	v_lshrrev_b32_e32 v29, 20, v11
	v_mul_lo_u16 v5, v15, 17
	v_and_b32_e32 v9, 0xff, v4
	v_lshrrev_b32_e32 v38, 20, v14
	v_mul_lo_u16 v10, v28, 17
	v_mul_lo_u16 v11, v29, 17
	v_sub_nc_u16 v12, v96, v5
	v_mul_lo_u16 v5, 0xf1, v9
	v_add_co_u32 v9, null, 0x165, v96
	v_sub_nc_u16 v36, v6, v10
	v_mov_b32_e32 v27, 3
	v_lshrrev_b16 v35, 12, v5
	v_mul_u32_u24_sdwa v6, v9, v7 dst_sel:DWORD dst_unused:UNUSED_PAD src0_sel:WORD_0 src1_sel:DWORD
	v_and_b32_e32 v34, 0xff, v12
	v_sub_nc_u16 v37, v8, v11
	v_mul_lo_u16 v10, v38, 17
	v_mul_lo_u16 v16, v35, 17
	v_lshrrev_b32_e32 v39, 20, v6
	v_lshlrev_b32_e32 v12, 3, v34
	v_lshlrev_b32_sdwa v8, v27, v36 dst_sel:DWORD dst_unused:UNUSED_PAD src0_sel:DWORD src1_sel:WORD_0
	v_lshlrev_b32_sdwa v6, v27, v37 dst_sel:DWORD dst_unused:UNUSED_PAD src0_sel:DWORD src1_sel:WORD_0
	v_sub_nc_u16 v7, v4, v16
	v_sub_nc_u16 v41, v13, v10
	s_load_dwordx4 s[4:7], s[0:1], 0x0
	s_waitcnt lgkmcnt(0)
	s_barrier
	v_and_b32_e32 v40, 0xff, v7
	v_mul_lo_u16 v7, v39, 17
	buffer_gl0_inv
	s_clause 0x2
	global_load_dwordx2 v[77:78], v8, s[2:3]
	global_load_dwordx2 v[79:80], v12, s[2:3]
	;; [unrolled: 1-line block ×3, first 2 shown]
	v_sub_nc_u16 v42, v9, v7
	v_lshlrev_b32_e32 v6, 3, v40
	v_lshlrev_b32_sdwa v7, v27, v41 dst_sel:DWORD dst_unused:UNUSED_PAD src0_sel:DWORD src1_sel:WORD_0
	v_lshlrev_b32_sdwa v97, v27, v96 dst_sel:DWORD dst_unused:UNUSED_PAD src0_sel:DWORD src1_sel:WORD_0
	v_mul_lo_u16 v45, v15, 34
	v_lshlrev_b32_sdwa v8, v27, v42 dst_sel:DWORD dst_unused:UNUSED_PAD src0_sel:DWORD src1_sel:WORD_0
	s_clause 0x2
	global_load_dwordx2 v[85:86], v6, s[2:3]
	global_load_dwordx2 v[83:84], v7, s[2:3]
	;; [unrolled: 1-line block ×3, first 2 shown]
	v_add_nc_u32_e32 v11, 0x2400, v97
	v_add_nc_u32_e32 v16, 0x1400, v97
	;; [unrolled: 1-line block ×5, first 2 shown]
	ds_read2_b64 v[11:14], v11 offset0:38 offset1:157
	ds_read2_b64 v[7:10], v97 offset1:119
	ds_read2_b64 v[15:18], v16 offset0:74 offset1:193
	ds_read2_b64 v[19:22], v19 offset0:110 offset1:229
	;; [unrolled: 1-line block ×4, first 2 shown]
	v_mov_b32_e32 v43, 34
	v_and_b32_e32 v45, 0xfe, v45
	v_mad_u16 v28, v28, 34, v36
	v_mad_u16 v29, v29, 34, v37
	;; [unrolled: 1-line block ×3, first 2 shown]
	v_mul_u32_u24_sdwa v35, v35, v43 dst_sel:DWORD dst_unused:UNUSED_PAD src0_sel:WORD_0 src1_sel:DWORD
	v_mad_u16 v39, v39, 34, v42
	v_add_lshl_u32 v104, v45, v34, 3
	v_lshlrev_b32_sdwa v101, v27, v28 dst_sel:DWORD dst_unused:UNUSED_PAD src0_sel:DWORD src1_sel:WORD_0
	v_lshlrev_b32_sdwa v100, v27, v29 dst_sel:DWORD dst_unused:UNUSED_PAD src0_sel:DWORD src1_sel:WORD_0
	v_add_lshl_u32 v105, v35, v40, 3
	v_lshlrev_b32_sdwa v103, v27, v38 dst_sel:DWORD dst_unused:UNUSED_PAD src0_sel:DWORD src1_sel:WORD_0
	v_lshlrev_b32_sdwa v102, v27, v39 dst_sel:DWORD dst_unused:UNUSED_PAD src0_sel:DWORD src1_sel:WORD_0
	v_add_nc_u32_e32 v54, 0x1800, v97
	s_waitcnt vmcnt(0) lgkmcnt(0)
	s_barrier
	buffer_gl0_inv
	v_cmp_gt_u16_e64 s0, 0x55, v96
	v_mul_f32_e32 v28, v11, v78
	v_mul_f32_e32 v35, v16, v80
	;; [unrolled: 1-line block ×6, first 2 shown]
	v_fmac_f32_e32 v28, v12, v77
	v_fma_f32 v12, v13, v75, -v29
	v_fmac_f32_e32 v34, v14, v75
	v_fma_f32 v13, v15, v79, -v35
	v_mul_f32_e32 v14, v18, v86
	v_mul_f32_e32 v15, v17, v86
	v_fma_f32 v11, v11, v77, -v27
	v_fmac_f32_e32 v38, v16, v79
	v_mul_f32_e32 v16, v24, v84
	v_mul_f32_e32 v27, v23, v84
	;; [unrolled: 1-line block ×4, first 2 shown]
	v_fma_f32 v14, v17, v85, -v14
	v_fmac_f32_e32 v15, v18, v85
	v_fma_f32 v16, v23, v83, -v16
	v_fmac_f32_e32 v27, v24, v83
	;; [unrolled: 2-line block ×3, first 2 shown]
	v_sub_f32_e32 v36, v30, v11
	v_sub_f32_e32 v48, v32, v12
	;; [unrolled: 1-line block ×12, first 2 shown]
	v_fma_f32 v7, v7, 2.0, -v11
	v_fma_f32 v8, v8, 2.0, -v12
	;; [unrolled: 1-line block ×12, first 2 shown]
	ds_write2_b64 v104, v[7:8], v[11:12] offset1:17
	ds_write2_b64 v105, v[9:10], v[13:14] offset1:17
	;; [unrolled: 1-line block ×6, first 2 shown]
	s_waitcnt lgkmcnt(0)
	s_barrier
	buffer_gl0_inv
	ds_read2_b64 v[32:35], v97 offset1:204
	ds_read2_b64 v[44:47], v44 offset0:24 offset1:228
	ds_read2_b64 v[40:43], v54 offset0:48 offset1:252
	ds_read_b64 v[54:55], v97 offset:9792
	s_and_saveexec_b32 s1, s0
	s_cbranch_execz .LBB0_9
; %bb.8:
	v_add_nc_u32_e32 v7, 0x300, v97
	ds_read2_b64 v[48:51], v6 offset0:39 offset1:243
	v_add_nc_u32_e32 v6, 0x1000, v97
	ds_read_b64 v[52:53], v97 offset:10744
	ds_read2_b64 v[28:31], v7 offset0:23 offset1:227
	ds_read2_b64 v[36:39], v6 offset0:15 offset1:219
.LBB0_9:
	s_or_b32 exec_lo, exec_lo, s1
	v_lshrrev_b16 v98, 13, v5
	v_and_b32_e32 v6, 0xff, v96
	v_mov_b32_e32 v56, 0xee
	v_mul_lo_u16 v5, v98, 34
	v_sub_nc_u16 v4, v4, v5
	v_mul_lo_u16 v5, 0xf1, v6
	v_and_b32_e32 v99, 0xff, v4
	v_lshrrev_b16 v57, 13, v5
	v_mad_u64_u32 v[12:13], null, v99, 48, s[2:3]
	v_mul_lo_u16 v4, v57, 34
	v_mul_u32_u24_sdwa v57, v57, v56 dst_sel:DWORD dst_unused:UNUSED_PAD src0_sel:WORD_0 src1_sel:DWORD
	v_sub_nc_u16 v8, v96, v4
	global_load_dwordx4 v[4:7], v[12:13], off offset:152
	v_and_b32_e32 v58, 0xff, v8
	global_load_dwordx4 v[8:11], v[12:13], off offset:168
	v_mad_u64_u32 v[14:15], null, v58, 48, s[2:3]
	v_add_lshl_u32 v106, v57, v58, 3
	s_clause 0x3
	global_load_dwordx4 v[24:27], v[14:15], off offset:136
	global_load_dwordx4 v[20:23], v[14:15], off offset:152
	global_load_dwordx4 v[16:19], v[14:15], off offset:168
	global_load_dwordx4 v[12:15], v[12:13], off offset:136
	s_waitcnt vmcnt(0) lgkmcnt(0)
	s_barrier
	buffer_gl0_inv
	v_mul_f32_e32 v57, v39, v5
	v_mul_f32_e32 v58, v38, v5
	;; [unrolled: 1-line block ×8, first 2 shown]
	v_fma_f32 v38, v38, v4, -v57
	v_fmac_f32_e32 v58, v39, v4
	v_fma_f32 v39, v48, v6, -v59
	v_fmac_f32_e32 v60, v49, v6
	;; [unrolled: 2-line block ×4, first 2 shown]
	v_mul_f32_e32 v50, v35, v25
	v_mul_f32_e32 v51, v34, v25
	;; [unrolled: 1-line block ×16, first 2 shown]
	v_fma_f32 v34, v34, v24, -v50
	v_fmac_f32_e32 v51, v35, v24
	v_fma_f32 v35, v44, v26, -v52
	v_fmac_f32_e32 v53, v45, v26
	v_fma_f32 v44, v46, v20, -v57
	v_fma_f32 v40, v40, v22, -v61
	v_fmac_f32_e32 v63, v41, v22
	v_fma_f32 v41, v42, v16, -v65
	v_fmac_f32_e32 v66, v43, v16
	;; [unrolled: 2-line block ×5, first 2 shown]
	v_fmac_f32_e32 v59, v47, v20
	v_add_f32_e32 v36, v34, v42
	v_add_f32_e32 v37, v51, v68
	v_sub_f32_e32 v42, v34, v42
	v_sub_f32_e32 v43, v51, v68
	v_add_f32_e32 v34, v35, v41
	v_add_f32_e32 v45, v53, v66
	v_sub_f32_e32 v35, v35, v41
	v_sub_f32_e32 v41, v53, v66
	v_add_f32_e32 v46, v44, v40
	v_sub_f32_e32 v40, v40, v44
	v_add_f32_e32 v50, v30, v49
	v_add_f32_e32 v51, v70, v64
	;; [unrolled: 1-line block ×6, first 2 shown]
	v_sub_f32_e32 v38, v39, v38
	v_sub_f32_e32 v39, v60, v58
	v_add_f32_e32 v47, v59, v63
	v_sub_f32_e32 v44, v63, v59
	v_sub_f32_e32 v49, v30, v49
	;; [unrolled: 1-line block ×5, first 2 shown]
	v_add_f32_e32 v57, v34, v36
	v_add_f32_e32 v58, v45, v37
	;; [unrolled: 1-line block ×3, first 2 shown]
	v_sub_f32_e32 v64, v40, v35
	v_sub_f32_e32 v66, v42, v40
	v_add_f32_e32 v40, v53, v50
	v_add_f32_e32 v68, v54, v51
	v_sub_f32_e32 v59, v34, v36
	v_sub_f32_e32 v60, v45, v37
	;; [unrolled: 1-line block ×6, first 2 shown]
	v_add_f32_e32 v63, v44, v41
	v_sub_f32_e32 v65, v44, v41
	v_sub_f32_e32 v67, v35, v42
	v_sub_f32_e32 v41, v41, v43
	v_sub_f32_e32 v30, v53, v50
	v_sub_f32_e32 v31, v54, v51
	v_sub_f32_e32 v50, v50, v88
	v_sub_f32_e32 v51, v51, v89
	v_sub_f32_e32 v34, v88, v53
	v_sub_f32_e32 v35, v89, v54
	v_add_f32_e32 v53, v38, v48
	v_add_f32_e32 v54, v39, v55
	v_sub_f32_e32 v69, v38, v48
	v_sub_f32_e32 v70, v39, v55
	v_sub_f32_e32 v71, v49, v38
	v_sub_f32_e32 v38, v48, v49
	v_sub_f32_e32 v48, v55, v52
	v_add_f32_e32 v46, v46, v57
	v_add_f32_e32 v47, v47, v58
	;; [unrolled: 1-line block ×4, first 2 shown]
	v_sub_f32_e32 v44, v43, v44
	v_sub_f32_e32 v87, v52, v39
	v_add_f32_e32 v57, v62, v42
	v_add_f32_e32 v58, v63, v43
	v_mul_f32_e32 v43, 0x3f4a47b2, v36
	v_mul_f32_e32 v62, 0x3f4a47b2, v37
	;; [unrolled: 1-line block ×8, first 2 shown]
	v_add_f32_e32 v40, v53, v49
	v_add_f32_e32 v36, v54, v52
	v_mul_f32_e32 v49, 0x3f4a47b2, v50
	v_mul_f32_e32 v50, 0x3f4a47b2, v51
	;; [unrolled: 1-line block ×6, first 2 shown]
	v_add_f32_e32 v54, v32, v46
	v_add_f32_e32 v55, v33, v47
	;; [unrolled: 1-line block ×4, first 2 shown]
	v_fmamk_f32 v48, v61, 0x3d64c772, v43
	v_fmamk_f32 v45, v45, 0x3d64c772, v62
	v_fma_f32 v51, 0x3f3bfb3b, v59, -v63
	v_fma_f32 v53, 0x3f3bfb3b, v60, -v90
	;; [unrolled: 1-line block ×4, first 2 shown]
	v_fmamk_f32 v69, v66, 0x3eae86e6, v64
	v_fmamk_f32 v70, v44, 0x3eae86e6, v65
	v_fma_f32 v63, 0x3f5ff5aa, v41, -v65
	v_fma_f32 v66, 0xbeae86e6, v66, -v91
	;; [unrolled: 1-line block ×3, first 2 shown]
	v_fmamk_f32 v61, v34, 0x3d64c772, v49
	v_fmamk_f32 v62, v35, 0x3d64c772, v50
	v_fma_f32 v49, 0xbf3bfb3b, v30, -v49
	v_fma_f32 v65, 0xbf3bfb3b, v31, -v50
	v_fmamk_f32 v32, v71, 0x3eae86e6, v39
	v_fmamk_f32 v33, v87, 0x3eae86e6, v37
	v_fma_f32 v43, 0xbeae86e6, v71, -v42
	v_fma_f32 v41, 0xbeae86e6, v87, -v38
	v_fmamk_f32 v46, v46, 0xbf955555, v54
	v_fmamk_f32 v47, v47, 0xbf955555, v55
	;; [unrolled: 1-line block ×4, first 2 shown]
	v_fma_f32 v64, 0x3f5ff5aa, v67, -v64
	v_fmac_f32_e32 v69, 0x3ee1c552, v57
	v_fmac_f32_e32 v70, 0x3ee1c552, v58
	;; [unrolled: 1-line block ×9, first 2 shown]
	v_add_f32_e32 v67, v48, v46
	v_add_f32_e32 v45, v45, v47
	;; [unrolled: 1-line block ×10, first 2 shown]
	v_fmac_f32_e32 v64, 0x3ee1c552, v57
	v_add_f32_e32 v57, v70, v67
	v_sub_f32_e32 v58, v45, v69
	v_add_f32_e32 v59, v44, v46
	v_sub_f32_e32 v60, v47, v66
	v_sub_f32_e32 v61, v68, v63
	v_add_f32_e32 v63, v63, v68
	v_sub_f32_e32 v65, v46, v44
	v_add_f32_e32 v66, v66, v47
	v_add_f32_e32 v68, v69, v45
	v_sub_f32_e32 v44, v49, v41
	v_add_f32_e32 v45, v43, v53
	v_sub_f32_e32 v46, v48, v33
	v_add_f32_e32 v47, v32, v51
	v_add_f32_e32 v62, v64, v71
	v_sub_f32_e32 v64, v71, v64
	v_sub_f32_e32 v67, v67, v70
	ds_write2_b64 v106, v[54:55], v[57:58] offset1:34
	ds_write2_b64 v106, v[59:60], v[61:62] offset0:68 offset1:102
	ds_write2_b64 v106, v[63:64], v[65:66] offset0:136 offset1:170
	ds_write_b64 v106, v[67:68] offset:1632
	s_and_saveexec_b32 s1, s0
	s_cbranch_execz .LBB0_11
; %bb.10:
	v_mul_f32_e32 v35, 0x3d64c772, v35
	v_mul_f32_e32 v31, 0x3f3bfb3b, v31
	;; [unrolled: 1-line block ×5, first 2 shown]
	v_sub_f32_e32 v39, v42, v39
	v_sub_f32_e32 v31, v31, v35
	v_mul_f32_e32 v35, 0x3ee1c552, v36
	v_sub_f32_e32 v36, v38, v37
	v_sub_f32_e32 v30, v30, v34
	v_add_f32_e32 v34, v40, v39
	v_add_f32_e32 v37, v31, v52
	v_sub_f32_e32 v39, v51, v32
	v_add_f32_e32 v40, v35, v36
	v_mul_u32_u24_sdwa v36, v98, v56 dst_sel:DWORD dst_unused:UNUSED_PAD src0_sel:WORD_0 src1_sel:DWORD
	v_add_f32_e32 v30, v30, v50
	v_add_f32_e32 v38, v33, v48
	v_sub_f32_e32 v31, v37, v34
	v_add_f32_e32 v35, v34, v37
	v_add_lshl_u32 v32, v36, v99, 3
	v_sub_f32_e32 v34, v30, v40
	v_sub_f32_e32 v37, v53, v43
	v_add_f32_e32 v36, v41, v49
	v_add_f32_e32 v30, v40, v30
	ds_write2_b64 v32, v[28:29], v[38:39] offset1:34
	ds_write2_b64 v32, v[36:37], v[34:35] offset0:68 offset1:102
	ds_write2_b64 v32, v[30:31], v[44:45] offset0:136 offset1:170
	ds_write_b64 v32, v[46:47] offset:1632
.LBB0_11:
	s_or_b32 exec_lo, exec_lo, s1
	v_mad_u64_u32 v[36:37], null, v96, 40, s[2:3]
	s_waitcnt lgkmcnt(0)
	s_barrier
	buffer_gl0_inv
	v_add_nc_u32_e32 v107, 0x400, v97
	v_add_nc_u32_e32 v108, 0xc00, v97
	;; [unrolled: 1-line block ×3, first 2 shown]
	v_add_co_u32 v38, s1, 0x1800, v36
	v_add_co_ci_u32_e64 v39, s1, 0, v37, s1
	v_add_co_u32 v48, s1, 0x1980, v36
	s_clause 0x2
	global_load_dwordx4 v[32:35], v[36:37], off offset:1768
	global_load_dwordx4 v[28:31], v[36:37], off offset:1784
	global_load_dwordx2 v[87:88], v[36:37], off offset:1800
	v_add_co_ci_u32_e64 v49, s1, 0, v37, s1
	s_clause 0x2
	global_load_dwordx4 v[40:43], v[38:39], off offset:384
	global_load_dwordx4 v[36:39], v[48:49], off offset:16
	global_load_dwordx2 v[89:90], v[48:49], off offset:32
	v_add_nc_u32_e32 v110, 0x1c00, v97
	v_add_nc_u32_e32 v111, 0x2400, v97
	ds_read2_b64 v[48:51], v107 offset0:110 offset1:229
	ds_read2_b64 v[52:55], v108 offset0:92 offset1:211
	;; [unrolled: 1-line block ×5, first 2 shown]
	ds_read2_b64 v[91:94], v97 offset1:119
	s_waitcnt vmcnt(5) lgkmcnt(5)
	v_mul_f32_e32 v68, v49, v33
	v_mul_f32_e32 v69, v48, v33
	s_waitcnt lgkmcnt(4)
	v_mul_f32_e32 v70, v53, v35
	v_mul_f32_e32 v71, v52, v35
	s_waitcnt vmcnt(4) lgkmcnt(3)
	v_mul_f32_e32 v112, v57, v29
	v_mul_f32_e32 v113, v56, v29
	s_waitcnt lgkmcnt(2)
	v_mul_f32_e32 v114, v61, v31
	v_mul_f32_e32 v115, v60, v31
	s_waitcnt vmcnt(3) lgkmcnt(1)
	v_mul_f32_e32 v116, v65, v88
	v_mul_f32_e32 v117, v64, v88
	v_fma_f32 v68, v48, v32, -v68
	v_fmac_f32_e32 v69, v49, v32
	v_fma_f32 v48, v52, v34, -v70
	v_fmac_f32_e32 v71, v53, v34
	;; [unrolled: 2-line block ×5, first 2 shown]
	s_waitcnt vmcnt(2)
	v_mul_f32_e32 v56, v51, v41
	v_mul_f32_e32 v60, v50, v41
	;; [unrolled: 1-line block ×4, first 2 shown]
	s_waitcnt vmcnt(1)
	v_mul_f32_e32 v64, v59, v37
	v_mul_f32_e32 v65, v58, v37
	;; [unrolled: 1-line block ×3, first 2 shown]
	s_waitcnt vmcnt(0)
	v_mul_f32_e32 v114, v67, v90
	v_mul_f32_e32 v116, v66, v90
	;; [unrolled: 1-line block ×3, first 2 shown]
	v_fma_f32 v118, v50, v40, -v56
	v_fmac_f32_e32 v60, v51, v40
	v_fma_f32 v50, v54, v42, -v57
	v_fmac_f32_e32 v61, v55, v42
	;; [unrolled: 2-line block ×3, first 2 shown]
	v_fma_f32 v56, v62, v38, -v70
	v_fma_f32 v57, v66, v89, -v114
	v_fmac_f32_e32 v116, v67, v89
	v_add_f32_e32 v55, v48, v52
	s_waitcnt lgkmcnt(0)
	v_add_f32_e32 v59, v92, v71
	v_add_f32_e32 v62, v71, v115
	;; [unrolled: 1-line block ×4, first 2 shown]
	v_fmac_f32_e32 v112, v63, v38
	v_add_f32_e32 v54, v91, v48
	v_sub_f32_e32 v58, v71, v115
	v_add_f32_e32 v63, v68, v49
	v_sub_f32_e32 v66, v113, v117
	;; [unrolled: 2-line block ×3, first 2 shown]
	v_fma_f32 v71, -0.5, v55, v91
	v_add_f32_e32 v55, v59, v115
	v_fma_f32 v59, -0.5, v62, v92
	v_fmac_f32_e32 v68, -0.5, v64
	v_fmac_f32_e32 v69, -0.5, v70
	v_add_f32_e32 v92, v51, v57
	v_sub_f32_e32 v113, v65, v116
	v_add_f32_e32 v114, v60, v65
	v_add_f32_e32 v65, v65, v116
	v_sub_f32_e32 v48, v48, v52
	v_add_f32_e32 v52, v54, v52
	v_add_f32_e32 v53, v63, v53
	v_add_f32_e32 v62, v67, v117
	v_add_f32_e32 v63, v93, v50
	v_add_f32_e32 v64, v50, v56
	v_sub_f32_e32 v67, v61, v112
	v_add_f32_e32 v70, v94, v61
	v_add_f32_e32 v61, v61, v112
	;; [unrolled: 1-line block ×3, first 2 shown]
	v_sub_f32_e32 v51, v51, v57
	v_fmamk_f32 v117, v66, 0x3f5db3d7, v68
	v_fmac_f32_e32 v68, 0xbf5db3d7, v66
	v_fmamk_f32 v66, v49, 0xbf5db3d7, v69
	v_fmac_f32_e32 v118, -0.5, v92
	v_fmac_f32_e32 v60, -0.5, v65
	v_fmamk_f32 v115, v58, 0x3f5db3d7, v71
	v_fmac_f32_e32 v71, 0xbf5db3d7, v58
	v_fmamk_f32 v58, v48, 0xbf5db3d7, v59
	v_fmac_f32_e32 v59, 0x3f5db3d7, v48
	v_fmac_f32_e32 v69, 0x3f5db3d7, v49
	v_add_f32_e32 v48, v52, v53
	v_sub_f32_e32 v54, v52, v53
	v_add_f32_e32 v52, v63, v56
	v_fma_f32 v93, -0.5, v64, v93
	v_fmac_f32_e32 v94, -0.5, v61
	v_add_f32_e32 v61, v91, v57
	v_add_f32_e32 v63, v114, v116
	v_mul_f32_e32 v64, 0x3f5db3d7, v66
	v_mul_f32_e32 v91, 0xbf5db3d7, v117
	v_fmamk_f32 v114, v113, 0x3f5db3d7, v118
	v_fmac_f32_e32 v118, 0xbf5db3d7, v113
	v_fmamk_f32 v113, v51, 0xbf5db3d7, v60
	v_fmac_f32_e32 v60, 0x3f5db3d7, v51
	v_sub_f32_e32 v50, v50, v56
	v_mul_f32_e32 v65, -0.5, v68
	v_mul_f32_e32 v92, -0.5, v69
	v_fmac_f32_e32 v64, 0.5, v117
	v_fmac_f32_e32 v91, 0.5, v66
	v_mul_f32_e32 v66, 0x3f5db3d7, v113
	v_mul_f32_e32 v116, -0.5, v118
	v_mul_f32_e32 v117, 0xbf5db3d7, v114
	v_mul_f32_e32 v119, -0.5, v60
	v_add_f32_e32 v53, v70, v112
	v_fmamk_f32 v112, v67, 0x3f5db3d7, v93
	v_fmac_f32_e32 v93, 0xbf5db3d7, v67
	v_fmamk_f32 v67, v50, 0xbf5db3d7, v94
	v_fmac_f32_e32 v94, 0x3f5db3d7, v50
	v_fmac_f32_e32 v65, 0x3f5db3d7, v69
	;; [unrolled: 1-line block ×3, first 2 shown]
	v_fmac_f32_e32 v66, 0.5, v114
	v_fmac_f32_e32 v116, 0x3f5db3d7, v60
	v_fmac_f32_e32 v117, 0.5, v113
	v_fmac_f32_e32 v119, 0xbf5db3d7, v118
	v_add_f32_e32 v49, v55, v62
	v_sub_f32_e32 v55, v55, v62
	v_add_f32_e32 v56, v52, v61
	v_add_f32_e32 v57, v53, v63
	v_sub_f32_e32 v62, v52, v61
	v_sub_f32_e32 v63, v53, v63
	v_add_f32_e32 v50, v115, v64
	v_add_f32_e32 v52, v71, v65
	v_add_f32_e32 v51, v58, v91
	v_add_f32_e32 v53, v59, v92
	v_sub_f32_e32 v68, v115, v64
	v_sub_f32_e32 v70, v71, v65
	v_sub_f32_e32 v69, v58, v91
	v_sub_f32_e32 v71, v59, v92
	v_add_f32_e32 v58, v112, v66
	v_add_f32_e32 v60, v93, v116
	;; [unrolled: 1-line block ×4, first 2 shown]
	v_sub_f32_e32 v64, v112, v66
	v_sub_f32_e32 v66, v93, v116
	;; [unrolled: 1-line block ×4, first 2 shown]
	ds_write2_b64 v97, v[48:49], v[56:57] offset1:119
	ds_write2_b64 v109, v[54:55], v[62:63] offset0:74 offset1:193
	ds_write2_b64 v107, v[50:51], v[58:59] offset0:110 offset1:229
	;; [unrolled: 1-line block ×5, first 2 shown]
	s_waitcnt lgkmcnt(0)
	s_barrier
	buffer_gl0_inv
	s_and_saveexec_b32 s2, vcc_lo
	s_cbranch_execz .LBB0_13
; %bb.12:
	v_add_co_u32 v113, s1, s12, v95
	v_add_co_ci_u32_e64 v114, null, s13, 0, s1
	v_add_nc_u32_e32 v168, 0x400, v95
	v_add_co_u32 v91, s1, 0x2800, v113
	v_add_co_ci_u32_e64 v92, s1, 0, v114, s1
	v_add_co_u32 v93, s1, 0x2ca0, v113
	v_add_co_ci_u32_e64 v94, s1, 0, v114, s1
	global_load_dwordx2 v[91:92], v[91:92], off offset:1184
	v_add_co_u32 v107, s1, 0x3000, v113
	v_add_co_ci_u32_e64 v108, s1, 0, v114, s1
	v_add_co_u32 v109, s1, 0x3800, v113
	v_add_co_ci_u32_e64 v110, s1, 0, v114, s1
	;; [unrolled: 2-line block ×3, first 2 shown]
	s_clause 0x5
	global_load_dwordx2 v[135:136], v[93:94], off offset:672
	global_load_dwordx2 v[137:138], v[93:94], off offset:1344
	global_load_dwordx2 v[139:140], v[93:94], off offset:2016
	global_load_dwordx2 v[141:142], v[107:108], off offset:1824
	global_load_dwordx2 v[143:144], v[109:110], off offset:448
	global_load_dwordx2 v[145:146], v[109:110], off offset:1120
	v_add_co_u32 v93, s1, 0x4800, v113
	v_add_co_ci_u32_e64 v94, s1, 0, v114, s1
	v_add_co_u32 v107, s1, 0x5000, v113
	v_add_co_ci_u32_e64 v108, s1, 0, v114, s1
	s_clause 0x9
	global_load_dwordx2 v[147:148], v[109:110], off offset:1792
	global_load_dwordx2 v[149:150], v[111:112], off offset:416
	;; [unrolled: 1-line block ×10, first 2 shown]
	ds_read_b64 v[93:94], v97
	v_add_nc_u32_e32 v169, 0x800, v95
	v_add_nc_u32_e32 v170, 0x1000, v95
	;; [unrolled: 1-line block ×6, first 2 shown]
	s_waitcnt vmcnt(16) lgkmcnt(0)
	v_mul_f32_e32 v107, v94, v92
	v_mul_f32_e32 v108, v93, v92
	v_fma_f32 v107, v93, v91, -v107
	v_fmac_f32_e32 v108, v94, v91
	ds_write_b64 v97, v[107:108]
	ds_read2_b64 v[91:94], v95 offset0:84 offset1:168
	ds_read2_b64 v[107:110], v168 offset0:124 offset1:208
	;; [unrolled: 1-line block ×8, first 2 shown]
	s_waitcnt vmcnt(15) lgkmcnt(7)
	v_mul_f32_e32 v175, v92, v136
	v_mul_f32_e32 v167, v91, v136
	s_waitcnt vmcnt(14)
	v_mul_f32_e32 v176, v94, v138
	v_mul_f32_e32 v136, v93, v138
	s_waitcnt vmcnt(13) lgkmcnt(6)
	v_mul_f32_e32 v177, v108, v140
	v_mul_f32_e32 v138, v107, v140
	s_waitcnt vmcnt(12)
	v_mul_f32_e32 v178, v110, v142
	v_mul_f32_e32 v140, v109, v142
	;; [unrolled: 6-line block ×8, first 2 shown]
	v_fma_f32 v166, v91, v135, -v175
	v_fmac_f32_e32 v167, v92, v135
	v_fma_f32 v135, v93, v137, -v176
	v_fmac_f32_e32 v136, v94, v137
	;; [unrolled: 2-line block ×16, first 2 shown]
	ds_write2_b64 v95, v[166:167], v[135:136] offset0:84 offset1:168
	ds_write2_b64 v168, v[137:138], v[139:140] offset0:124 offset1:208
	;; [unrolled: 1-line block ×8, first 2 shown]
.LBB0_13:
	s_or_b32 exec_lo, exec_lo, s2
	s_waitcnt lgkmcnt(0)
	s_barrier
	buffer_gl0_inv
	s_and_saveexec_b32 s1, vcc_lo
	s_cbranch_execz .LBB0_15
; %bb.14:
	v_add_nc_u32_e32 v0, 0x800, v97
	v_add_nc_u32_e32 v1, 0xc00, v97
	v_add_nc_u32_e32 v2, 0x1000, v97
	ds_read2_b64 v[48:51], v97 offset1:84
	ds_read2_b64 v[52:55], v97 offset0:168 offset1:252
	v_add_nc_u32_e32 v3, 0x1c00, v97
	ds_read2_b64 v[68:71], v0 offset0:80 offset1:164
	v_add_nc_u32_e32 v0, 0x1800, v97
	v_add_nc_u32_e32 v73, 0x2000, v97
	ds_read2_b64 v[56:59], v1 offset0:120 offset1:204
	ds_read2_b64 v[60:63], v2 offset0:160 offset1:244
	;; [unrolled: 1-line block ×5, first 2 shown]
	ds_read_b64 v[73:74], v97 offset:10752
.LBB0_15:
	s_or_b32 exec_lo, exec_lo, s1
	s_waitcnt lgkmcnt(0)
	v_sub_f32_e32 v164, v51, v74
	v_add_f32_e32 v166, v74, v51
	v_add_f32_e32 v163, v73, v50
	v_sub_f32_e32 v165, v50, v73
	v_add_f32_e32 v117, v3, v53
	v_mul_f32_e32 v167, 0xbf7ee86f, v164
	v_mul_f32_e32 v168, 0x3dbcf732, v166
	v_sub_f32_e32 v115, v53, v3
	v_add_f32_e32 v107, v2, v52
	v_mul_f32_e32 v169, 0xbf763a35, v164
	v_fma_f32 v91, 0x3dbcf732, v163, -v167
	v_fmamk_f32 v92, v165, 0xbf7ee86f, v168
	v_mul_f32_e32 v170, 0xbe8c1d8e, v166
	v_mul_f32_e32 v132, 0xbe3c28d5, v115
	v_sub_f32_e32 v108, v52, v2
	v_mul_f32_e32 v136, 0xbf7ba420, v117
	v_add_f32_e32 v91, v48, v91
	v_add_f32_e32 v92, v49, v92
	v_fma_f32 v93, 0xbe8c1d8e, v163, -v169
	v_fmamk_f32 v94, v165, 0xbf763a35, v170
	v_fma_f32 v109, 0xbf7ba420, v107, -v132
	v_sub_f32_e32 v119, v55, v1
	v_fmamk_f32 v110, v108, 0xbe3c28d5, v136
	v_mul_f32_e32 v141, 0x3f06c442, v115
	v_mul_f32_e32 v143, 0xbf59a7d5, v117
	v_add_f32_e32 v122, v1, v55
	v_add_f32_e32 v93, v48, v93
	v_add_f32_e32 v94, v49, v94
	v_add_f32_e32 v91, v109, v91
	v_add_f32_e32 v109, v0, v54
	v_mul_f32_e32 v137, 0x3f763a35, v119
	v_add_f32_e32 v92, v110, v92
	v_fma_f32 v111, 0xbf59a7d5, v107, -v141
	v_fmamk_f32 v112, v108, 0x3f06c442, v143
	v_sub_f32_e32 v110, v54, v0
	v_mul_f32_e32 v138, 0xbe8c1d8e, v122
	v_sub_f32_e32 v123, v69, v47
	v_fma_f32 v113, 0xbe8c1d8e, v109, -v137
	v_add_f32_e32 v93, v111, v93
	v_add_f32_e32 v94, v112, v94
	v_fmamk_f32 v112, v110, 0x3f763a35, v138
	v_mul_f32_e32 v145, 0x3f2c7751, v119
	v_mul_f32_e32 v147, 0x3f3d2fb0, v122
	v_add_f32_e32 v111, v46, v68
	v_mul_f32_e32 v139, 0x3eb8f4ab, v123
	v_add_f32_e32 v126, v47, v69
	v_add_f32_e32 v91, v113, v91
	v_add_f32_e32 v92, v112, v92
	v_fma_f32 v113, 0x3f3d2fb0, v109, -v145
	v_fmamk_f32 v114, v110, 0x3f2c7751, v147
	v_fma_f32 v116, 0x3f6eb680, v111, -v139
	v_sub_f32_e32 v112, v68, v46
	v_mul_f32_e32 v140, 0x3f6eb680, v126
	v_sub_f32_e32 v127, v71, v45
	v_mul_f32_e32 v149, 0xbf65296c, v123
	v_mul_f32_e32 v152, 0x3ee437d1, v126
	v_add_f32_e32 v128, v45, v71
	v_add_f32_e32 v93, v113, v93
	;; [unrolled: 1-line block ×4, first 2 shown]
	v_fmamk_f32 v116, v112, 0x3eb8f4ab, v140
	v_add_f32_e32 v113, v44, v70
	v_mul_f32_e32 v142, 0xbf65296c, v127
	v_fma_f32 v118, 0x3ee437d1, v111, -v149
	v_fmamk_f32 v120, v112, 0xbf65296c, v152
	v_sub_f32_e32 v114, v70, v44
	v_mul_f32_e32 v144, 0x3ee437d1, v128
	v_add_f32_e32 v130, v67, v57
	v_fma_f32 v121, 0x3ee437d1, v113, -v142
	v_add_f32_e32 v92, v116, v92
	v_add_f32_e32 v93, v118, v93
	;; [unrolled: 1-line block ×3, first 2 shown]
	v_fmamk_f32 v120, v114, 0xbf65296c, v144
	v_sub_f32_e32 v129, v57, v67
	v_mul_f32_e32 v153, 0xbe3c28d5, v127
	v_mul_f32_e32 v157, 0xbf7ba420, v128
	v_sub_f32_e32 v118, v56, v66
	v_mul_f32_e32 v148, 0xbf59a7d5, v130
	v_add_f32_e32 v91, v121, v91
	v_add_f32_e32 v116, v66, v56
	v_mul_f32_e32 v146, 0xbf06c442, v129
	v_fma_f32 v121, 0xbf7ba420, v113, -v153
	v_fmamk_f32 v124, v114, 0xbe3c28d5, v157
	v_add_f32_e32 v92, v120, v92
	v_fmamk_f32 v120, v118, 0xbf06c442, v148
	v_mul_f32_e32 v156, 0x3f7ee86f, v129
	v_sub_f32_e32 v131, v59, v65
	v_fma_f32 v125, 0xbf59a7d5, v116, -v146
	v_add_f32_e32 v93, v121, v93
	v_add_f32_e32 v94, v124, v94
	v_add_f32_e32 v92, v120, v92
	v_add_f32_e32 v133, v65, v59
	v_fma_f32 v124, 0x3dbcf732, v116, -v156
	v_add_f32_e32 v120, v64, v58
	v_mul_f32_e32 v150, 0x3f4c4adb, v131
	v_mul_f32_e32 v158, 0xbeb8f4ab, v131
	v_add_f32_e32 v91, v125, v91
	v_mul_f32_e32 v159, 0x3dbcf732, v130
	v_sub_f32_e32 v121, v58, v64
	v_mul_f32_e32 v151, 0xbf1a4643, v133
	v_fma_f32 v134, 0xbf1a4643, v120, -v150
	v_add_f32_e32 v93, v124, v93
	v_fma_f32 v135, 0x3f6eb680, v120, -v158
	v_fmamk_f32 v125, v118, 0x3f7ee86f, v159
	v_fmamk_f32 v124, v121, 0x3f4c4adb, v151
	v_add_f32_e32 v91, v134, v91
	v_mul_f32_e32 v160, 0x3f6eb680, v133
	v_add_f32_e32 v171, v135, v93
	v_sub_f32_e32 v134, v61, v63
	v_add_f32_e32 v135, v63, v61
	v_add_f32_e32 v94, v125, v94
	;; [unrolled: 1-line block ×3, first 2 shown]
	v_fmamk_f32 v93, v121, 0xbeb8f4ab, v160
	v_add_f32_e32 v124, v62, v60
	v_sub_f32_e32 v125, v60, v62
	v_mul_f32_e32 v154, 0x3f2c7751, v134
	v_mul_f32_e32 v155, 0x3f3d2fb0, v135
	;; [unrolled: 1-line block ×4, first 2 shown]
	v_add_f32_e32 v172, v93, v94
	v_fma_f32 v93, 0x3f3d2fb0, v124, -v154
	v_fmamk_f32 v94, v125, 0x3f2c7751, v155
	v_fma_f32 v173, 0xbf1a4643, v124, -v161
	v_fmamk_f32 v174, v125, 0xbf4c4adb, v162
	v_add_f32_e32 v93, v93, v91
	v_add_f32_e32 v94, v94, v92
	;; [unrolled: 1-line block ×4, first 2 shown]
	s_barrier
	buffer_gl0_inv
	s_and_saveexec_b32 s1, vcc_lo
	s_cbranch_execz .LBB0_17
; %bb.16:
	v_add_f32_e32 v50, v50, v48
	v_add_f32_e32 v51, v51, v49
	v_mul_f32_e32 v177, 0x3f65296c, v134
	v_mul_f32_e32 v178, 0x3f65296c, v108
	;; [unrolled: 1-line block ×3, first 2 shown]
	v_add_f32_e32 v50, v52, v50
	v_add_f32_e32 v51, v53, v51
	v_mul_f32_e32 v52, 0xbf4c4adb, v165
	v_mul_f32_e32 v180, 0xbeb8f4ab, v114
	;; [unrolled: 1-line block ×3, first 2 shown]
	v_add_f32_e32 v50, v54, v50
	v_add_f32_e32 v51, v55, v51
	v_mul_f32_e32 v54, 0x3ee437d1, v166
	v_fmamk_f32 v53, v166, 0xbf1a4643, v52
	v_mul_f32_e32 v55, 0x3f3d2fb0, v166
	v_add_f32_e32 v50, v68, v50
	v_add_f32_e32 v51, v69, v51
	v_fma_f32 v52, 0xbf1a4643, v166, -v52
	v_add_f32_e32 v53, v49, v53
	v_mul_f32_e32 v182, 0x3f65296c, v115
	v_add_f32_e32 v50, v70, v50
	v_add_f32_e32 v51, v71, v51
	;; [unrolled: 1-line block ×3, first 2 shown]
	v_mul_f32_e32 v183, 0xbf7ee86f, v119
	v_mul_f32_e32 v184, 0x3f4c4adb, v123
	v_add_f32_e32 v50, v56, v50
	v_add_f32_e32 v51, v57, v51
	v_fmamk_f32 v57, v165, 0x3f65296c, v54
	v_fmac_f32_e32 v54, 0xbf65296c, v165
	v_mul_f32_e32 v56, 0x3f6eb680, v166
	v_add_f32_e32 v50, v58, v50
	v_add_f32_e32 v51, v59, v51
	v_fmamk_f32 v58, v165, 0x3f2c7751, v55
	v_add_f32_e32 v171, v49, v54
	v_mul_f32_e32 v54, 0x3f763a35, v108
	v_add_f32_e32 v50, v60, v50
	v_add_f32_e32 v51, v61, v51
	v_mul_f32_e32 v60, 0xbf4c4adb, v164
	v_mul_f32_e32 v61, 0xbe3c28d5, v164
	v_fmac_f32_e32 v55, 0xbf2c7751, v165
	v_add_f32_e32 v50, v62, v50
	v_add_f32_e32 v51, v63, v51
	v_mul_f32_e32 v62, 0xbf06c442, v164
	v_mul_f32_e32 v63, 0xbf65296c, v164
	v_fmamk_f32 v59, v165, 0x3eb8f4ab, v56
	v_add_f32_e32 v50, v64, v50
	v_add_f32_e32 v51, v65, v51
	v_mul_f32_e32 v64, 0xbf2c7751, v164
	v_mul_f32_e32 v65, 0xbeb8f4ab, v164
	v_fmac_f32_e32 v56, 0xbeb8f4ab, v165
	v_add_f32_e32 v50, v66, v50
	v_add_f32_e32 v51, v67, v51
	;; [unrolled: 1-line block ×3, first 2 shown]
	v_mul_f32_e32 v55, 0xbf06c442, v112
	v_add_f32_e32 v175, v49, v56
	v_add_f32_e32 v44, v44, v50
	v_add_f32_e32 v45, v45, v51
	v_mul_f32_e32 v50, 0xbf06c442, v165
	v_mul_f32_e32 v56, 0x3f7ee86f, v114
	v_fma_f32 v68, 0xbf1a4643, v163, -v60
	v_add_f32_e32 v44, v46, v44
	v_add_f32_e32 v45, v47, v45
	v_mul_f32_e32 v46, 0xbe3c28d5, v165
	v_fmamk_f32 v69, v163, 0x3ee437d1, v63
	v_fma_f32 v63, 0x3ee437d1, v163, -v63
	v_add_f32_e32 v0, v0, v44
	v_add_f32_e32 v1, v1, v45
	v_mul_f32_e32 v44, 0xbf7ee86f, v165
	v_fmamk_f32 v47, v166, 0xbf7ba420, v46
	v_fma_f32 v46, 0xbf7ba420, v166, -v46
	v_add_f32_e32 v0, v2, v0
	v_mul_f32_e32 v2, 0xbf763a35, v165
	v_add_f32_e32 v1, v3, v1
	v_mul_f32_e32 v3, 0xbe8c1d8e, v163
	v_sub_f32_e32 v44, v168, v44
	v_add_f32_e32 v168, v49, v57
	v_sub_f32_e32 v2, v170, v2
	v_mul_f32_e32 v57, 0xbf2c7751, v118
	v_add_f32_e32 v3, v3, v169
	v_add_f32_e32 v169, v49, v58
	;; [unrolled: 1-line block ×4, first 2 shown]
	v_fmamk_f32 v2, v117, 0xbe8c1d8e, v54
	v_add_f32_e32 v165, v48, v3
	v_mul_f32_e32 v58, 0x3f763a35, v115
	v_mul_f32_e32 v59, 0xbe3c28d5, v121
	v_fmamk_f32 v51, v166, 0xbf59a7d5, v50
	v_add_f32_e32 v2, v2, v53
	v_mul_f32_e32 v53, 0xbeb8f4ab, v110
	v_fma_f32 v50, 0xbf59a7d5, v166, -v50
	v_fmamk_f32 v70, v163, 0x3f3d2fb0, v64
	v_fma_f32 v64, 0x3f3d2fb0, v163, -v64
	v_add_f32_e32 v68, v48, v68
	v_fmamk_f32 v3, v122, 0x3f6eb680, v53
	v_add_f32_e32 v166, v49, v44
	v_add_f32_e32 v172, v48, v63
	v_fmamk_f32 v44, v133, 0xbf7ba420, v59
	v_mul_f32_e32 v63, 0xbeb8f4ab, v119
	v_add_f32_e32 v2, v3, v2
	v_fmamk_f32 v3, v126, 0xbf59a7d5, v55
	v_fmamk_f32 v71, v163, 0x3f6eb680, v65
	v_fma_f32 v65, 0x3f6eb680, v163, -v65
	v_add_f32_e32 v174, v48, v64
	v_mul_f32_e32 v64, 0xbf06c442, v123
	v_add_f32_e32 v2, v3, v2
	v_fmamk_f32 v3, v128, 0x3dbcf732, v56
	v_add_f32_e32 v176, v48, v65
	v_mul_f32_e32 v65, 0x3f7ee86f, v127
	v_add_f32_e32 v0, v73, v0
	v_mul_f32_e32 v73, 0xbe3c28d5, v131
	v_add_f32_e32 v2, v3, v2
	v_fmamk_f32 v3, v130, 0x3f3d2fb0, v57
	v_fma_f32 v54, 0xbe8c1d8e, v117, -v54
	v_fmac_f32_e32 v60, 0xbf1a4643, v163
	v_add_f32_e32 v1, v74, v1
	v_mul_f32_e32 v74, 0x3f65296c, v125
	v_add_f32_e32 v2, v3, v2
	v_fma_f32 v3, 0xbe8c1d8e, v107, -v58
	v_add_f32_e32 v52, v54, v52
	v_fma_f32 v53, 0x3f6eb680, v122, -v53
	v_add_f32_e32 v60, v48, v60
	v_add_f32_e32 v2, v44, v2
	;; [unrolled: 1-line block ×3, first 2 shown]
	v_fma_f32 v44, 0x3f6eb680, v109, -v63
	v_mul_f32_e32 v68, 0xbf2c7751, v129
	v_add_f32_e32 v52, v53, v52
	v_fma_f32 v53, 0xbf59a7d5, v126, -v55
	v_fmac_f32_e32 v58, 0xbe8c1d8e, v107
	v_add_f32_e32 v3, v44, v3
	v_fma_f32 v44, 0xbf59a7d5, v111, -v64
	v_fmac_f32_e32 v63, 0x3f6eb680, v109
	v_add_f32_e32 v52, v53, v52
	v_add_f32_e32 v53, v58, v60
	v_mul_f32_e32 v45, 0x3dbcf732, v163
	v_add_f32_e32 v3, v44, v3
	v_fma_f32 v44, 0x3dbcf732, v113, -v65
	v_add_f32_e32 v51, v49, v51
	v_add_f32_e32 v53, v63, v53
	v_fmac_f32_e32 v64, 0xbf59a7d5, v111
	v_add_f32_e32 v45, v45, v167
	v_add_f32_e32 v3, v44, v3
	v_fma_f32 v44, 0x3f3d2fb0, v116, -v68
	v_fma_f32 v54, 0x3dbcf732, v128, -v56
	v_add_f32_e32 v53, v64, v53
	v_fmac_f32_e32 v65, 0x3dbcf732, v113
	v_add_f32_e32 v167, v48, v45
	v_add_f32_e32 v3, v44, v3
	v_fma_f32 v44, 0xbf7ba420, v120, -v73
	v_add_f32_e32 v52, v54, v52
	v_fma_f32 v54, 0x3f3d2fb0, v130, -v57
	v_add_f32_e32 v53, v65, v53
	v_fmac_f32_e32 v68, 0x3f3d2fb0, v116
	v_add_f32_e32 v44, v44, v3
	v_fmamk_f32 v3, v135, 0x3ee437d1, v74
	v_add_f32_e32 v52, v54, v52
	v_fma_f32 v54, 0xbf7ba420, v133, -v59
	v_add_f32_e32 v53, v68, v53
	v_fmac_f32_e32 v73, 0xbf7ba420, v120
	v_add_f32_e32 v3, v3, v2
	v_fma_f32 v2, 0x3ee437d1, v124, -v177
	v_add_f32_e32 v52, v54, v52
	v_fmac_f32_e32 v177, 0x3ee437d1, v124
	v_add_f32_e32 v54, v73, v53
	v_fma_f32 v53, 0x3ee437d1, v135, -v74
	v_add_f32_e32 v2, v2, v44
	v_fmamk_f32 v44, v117, 0x3ee437d1, v178
	v_fma_f32 v67, 0xbf59a7d5, v163, -v62
	v_mul_f32_e32 v55, 0x3f2c7751, v110
	v_add_f32_e32 v53, v53, v52
	v_add_f32_e32 v52, v177, v54
	;; [unrolled: 1-line block ×3, first 2 shown]
	v_mul_f32_e32 v51, 0xbf7ee86f, v110
	v_mul_f32_e32 v54, 0x3f06c442, v108
	v_add_f32_e32 v67, v48, v67
	v_sub_f32_e32 v55, v147, v55
	v_fma_f32 v66, 0xbf7ba420, v163, -v61
	v_fmamk_f32 v45, v122, 0x3dbcf732, v51
	v_sub_f32_e32 v54, v143, v54
	v_fmac_f32_e32 v61, 0xbf7ba420, v163
	v_fmac_f32_e32 v62, 0xbf59a7d5, v163
	v_add_f32_e32 v163, v49, v46
	v_add_f32_e32 v44, v45, v44
	v_fmamk_f32 v45, v126, 0xbf1a4643, v179
	v_add_f32_e32 v54, v54, v164
	v_mul_f32_e32 v56, 0xbf59a7d5, v107
	v_mul_f32_e32 v185, 0xbeb8f4ab, v127
	;; [unrolled: 1-line block ×3, first 2 shown]
	v_add_f32_e32 v44, v45, v44
	v_fmamk_f32 v45, v128, 0x3f6eb680, v180
	v_add_f32_e32 v54, v55, v54
	v_mul_f32_e32 v55, 0xbf65296c, v112
	v_add_f32_e32 v56, v56, v141
	v_mul_f32_e32 v186, 0xbe3c28d5, v129
	v_add_f32_e32 v44, v45, v44
	v_fmamk_f32 v45, v130, 0xbf7ba420, v181
	v_sub_f32_e32 v55, v152, v55
	v_add_f32_e32 v56, v56, v165
	v_add_f32_e32 v57, v57, v145
	v_mul_f32_e32 v187, 0x3f2c7751, v131
	v_add_f32_e32 v44, v45, v44
	v_fma_f32 v45, 0x3ee437d1, v107, -v182
	v_add_f32_e32 v54, v55, v54
	v_mul_f32_e32 v55, 0xbe3c28d5, v114
	v_add_f32_e32 v56, v57, v56
	v_mul_f32_e32 v57, 0x3ee437d1, v111
	;; [unrolled: 2-line block ×3, first 2 shown]
	v_sub_f32_e32 v55, v157, v55
	v_mul_f32_e32 v188, 0xbf763a35, v125
	v_add_f32_e32 v57, v57, v149
	v_mul_f32_e32 v189, 0xbf763a35, v134
	v_fmamk_f32 v46, v133, 0x3f3d2fb0, v67
	v_add_f32_e32 v54, v55, v54
	v_mul_f32_e32 v55, 0x3f7ee86f, v118
	v_add_f32_e32 v66, v48, v66
	v_add_f32_e32 v61, v48, v61
	;; [unrolled: 1-line block ×3, first 2 shown]
	v_fma_f32 v46, 0x3dbcf732, v109, -v183
	v_sub_f32_e32 v55, v159, v55
	v_add_f32_e32 v62, v48, v62
	v_add_f32_e32 v69, v48, v69
	;; [unrolled: 1-line block ×4, first 2 shown]
	v_fma_f32 v46, 0xbf1a4643, v111, -v184
	v_add_f32_e32 v54, v55, v54
	v_add_f32_e32 v55, v57, v56
	v_mul_f32_e32 v56, 0xbf7ba420, v113
	v_add_f32_e32 v71, v48, v71
	v_add_f32_e32 v45, v46, v45
	v_fma_f32 v46, 0x3f6eb680, v113, -v185
	v_mul_f32_e32 v48, 0x3eb8f4ab, v108
	v_add_f32_e32 v56, v56, v153
	v_add_f32_e32 v47, v49, v47
	;; [unrolled: 1-line block ×4, first 2 shown]
	v_fma_f32 v46, 0xbf7ba420, v116, -v186
	v_mul_f32_e32 v49, 0xbf06c442, v110
	v_add_f32_e32 v55, v56, v55
	v_mul_f32_e32 v56, 0x3dbcf732, v116
	v_mul_f32_e32 v190, 0x3f2c7751, v112
	v_add_f32_e32 v45, v46, v45
	v_fma_f32 v46, 0x3f3d2fb0, v120, -v187
	v_mul_f32_e32 v191, 0xbf4c4adb, v114
	v_add_f32_e32 v56, v56, v156
	v_mul_f32_e32 v57, 0xbeb8f4ab, v121
	v_mul_f32_e32 v192, 0x3f65296c, v118
	v_add_f32_e32 v46, v46, v45
	v_fmamk_f32 v45, v135, 0xbe8c1d8e, v188
	v_add_f32_e32 v55, v56, v55
	v_mul_f32_e32 v56, 0x3f6eb680, v120
	v_sub_f32_e32 v57, v160, v57
	v_mul_f32_e32 v193, 0x3eb8f4ab, v115
	v_add_f32_e32 v45, v45, v44
	v_fma_f32 v44, 0xbe8c1d8e, v124, -v189
	v_add_f32_e32 v56, v56, v158
	v_add_f32_e32 v54, v57, v54
	v_mul_f32_e32 v57, 0xbf4c4adb, v125
	v_mul_f32_e32 v59, 0xbe8c1d8e, v109
	v_add_f32_e32 v44, v44, v46
	v_fmamk_f32 v46, v117, 0x3f6eb680, v48
	v_add_f32_e32 v56, v56, v55
	v_mul_f32_e32 v55, 0xbf1a4643, v124
	v_sub_f32_e32 v57, v162, v57
	v_fma_f32 v48, 0x3f6eb680, v117, -v48
	v_add_f32_e32 v46, v46, v47
	v_fmamk_f32 v47, v122, 0xbf59a7d5, v49
	v_add_f32_e32 v58, v55, v161
	v_add_f32_e32 v55, v57, v54
	v_mul_f32_e32 v57, 0x3f763a35, v110
	v_add_f32_e32 v48, v48, v163
	v_add_f32_e32 v46, v47, v46
	v_fmamk_f32 v47, v126, 0x3f3d2fb0, v190
	v_add_f32_e32 v54, v58, v56
	v_mul_f32_e32 v56, 0xbe3c28d5, v108
	v_sub_f32_e32 v57, v138, v57
	v_mul_f32_e32 v58, 0xbf7ba420, v107
	v_add_f32_e32 v46, v47, v46
	v_fmamk_f32 v47, v128, 0xbf1a4643, v191
	v_sub_f32_e32 v56, v136, v56
	v_fma_f32 v49, 0xbf59a7d5, v122, -v49
	v_add_f32_e32 v58, v58, v132
	v_add_f32_e32 v59, v59, v137
	;; [unrolled: 1-line block ×3, first 2 shown]
	v_fmamk_f32 v47, v130, 0x3ee437d1, v192
	v_add_f32_e32 v56, v56, v166
	v_add_f32_e32 v58, v58, v167
	;; [unrolled: 1-line block ×3, first 2 shown]
	v_fma_f32 v49, 0x3f3d2fb0, v126, -v190
	v_add_f32_e32 v46, v47, v46
	v_fma_f32 v47, 0x3f6eb680, v107, -v193
	v_add_f32_e32 v56, v57, v56
	v_mul_f32_e32 v57, 0x3eb8f4ab, v112
	v_fmac_f32_e32 v193, 0x3f6eb680, v107
	v_add_f32_e32 v58, v59, v58
	v_add_f32_e32 v47, v47, v66
	v_mul_f32_e32 v66, 0xbf763a35, v121
	v_sub_f32_e32 v57, v140, v57
	v_mul_f32_e32 v59, 0x3f6eb680, v111
	v_add_f32_e32 v48, v49, v48
	v_add_f32_e32 v49, v193, v61
	v_fmamk_f32 v194, v133, 0xbe8c1d8e, v66
	v_add_f32_e32 v56, v57, v56
	v_mul_f32_e32 v57, 0xbf65296c, v114
	v_add_f32_e32 v59, v59, v139
	v_fma_f32 v61, 0xbf1a4643, v128, -v191
	v_add_f32_e32 v46, v194, v46
	v_mul_f32_e32 v194, 0xbf06c442, v119
	v_sub_f32_e32 v57, v144, v57
	v_mul_f32_e32 v200, 0x3f7ee86f, v125
	v_add_f32_e32 v48, v61, v48
	v_fma_f32 v61, 0x3ee437d1, v130, -v192
	v_fma_f32 v195, 0xbf59a7d5, v109, -v194
	v_add_f32_e32 v56, v57, v56
	v_mul_f32_e32 v57, 0xbf06c442, v118
	v_fmac_f32_e32 v194, 0xbf59a7d5, v109
	v_mul_f32_e32 v201, 0x3f7ee86f, v134
	v_add_f32_e32 v47, v195, v47
	v_mul_f32_e32 v195, 0x3f2c7751, v123
	v_sub_f32_e32 v57, v148, v57
	v_add_f32_e32 v49, v194, v49
	v_add_f32_e32 v48, v61, v48
	v_fma_f32 v61, 0xbe8c1d8e, v133, -v66
	v_fma_f32 v196, 0x3f3d2fb0, v111, -v195
	v_fmac_f32_e32 v195, 0x3f3d2fb0, v111
	v_add_f32_e32 v56, v57, v56
	v_add_f32_e32 v57, v59, v58
	v_mul_f32_e32 v58, 0x3ee437d1, v113
	v_add_f32_e32 v47, v196, v47
	v_mul_f32_e32 v196, 0xbf4c4adb, v127
	v_add_f32_e32 v49, v195, v49
	v_add_f32_e32 v48, v61, v48
	;; [unrolled: 1-line block ×3, first 2 shown]
	v_mul_f32_e32 v59, 0x3f4c4adb, v121
	v_fma_f32 v197, 0xbf1a4643, v113, -v196
	v_fmac_f32_e32 v196, 0xbf1a4643, v113
	v_fma_f32 v51, 0x3dbcf732, v122, -v51
	v_add_f32_e32 v57, v58, v57
	v_mul_f32_e32 v58, 0xbf59a7d5, v116
	v_add_f32_e32 v47, v197, v47
	v_mul_f32_e32 v197, 0x3f65296c, v129
	v_add_f32_e32 v49, v196, v49
	v_sub_f32_e32 v59, v151, v59
	v_add_f32_e32 v58, v58, v146
	v_mul_f32_e32 v64, 0xbf1a4643, v117
	v_fma_f32 v198, 0x3ee437d1, v116, -v197
	v_fmac_f32_e32 v197, 0x3ee437d1, v116
	v_add_f32_e32 v56, v59, v56
	v_add_f32_e32 v57, v58, v57
	v_mul_f32_e32 v58, 0xbf1a4643, v120
	v_add_f32_e32 v47, v198, v47
	v_mul_f32_e32 v198, 0xbf763a35, v131
	v_add_f32_e32 v49, v197, v49
	v_mul_f32_e32 v59, 0x3f2c7751, v125
	v_add_f32_e32 v58, v58, v150
	v_mul_f32_e32 v65, 0xbf7ba420, v122
	v_fma_f32 v199, 0xbe8c1d8e, v120, -v198
	v_fmac_f32_e32 v198, 0xbe8c1d8e, v120
	v_sub_f32_e32 v59, v155, v59
	v_add_f32_e32 v58, v58, v57
	v_mul_f32_e32 v57, 0x3f3d2fb0, v124
	v_add_f32_e32 v199, v199, v47
	v_fmamk_f32 v47, v135, 0x3dbcf732, v200
	v_add_f32_e32 v61, v198, v49
	v_fma_f32 v49, 0x3dbcf732, v135, -v200
	v_add_f32_e32 v60, v57, v154
	v_add_f32_e32 v57, v59, v56
	;; [unrolled: 1-line block ×3, first 2 shown]
	v_fma_f32 v46, 0x3dbcf732, v124, -v201
	v_fmac_f32_e32 v201, 0x3dbcf732, v124
	v_add_f32_e32 v49, v49, v48
	v_add_f32_e32 v56, v60, v58
	v_fmamk_f32 v58, v108, 0x3f4c4adb, v64
	v_fmamk_f32 v59, v110, 0xbe3c28d5, v65
	v_add_f32_e32 v48, v201, v61
	v_fma_f32 v61, 0x3ee437d1, v117, -v178
	v_mul_f32_e32 v66, 0xbe8c1d8e, v126
	v_add_f32_e32 v58, v58, v168
	v_mul_f32_e32 v68, 0xbf4c4adb, v115
	v_mul_f32_e32 v73, 0x3e3c28d5, v119
	v_add_f32_e32 v50, v61, v50
	v_fma_f32 v61, 0x3f6eb680, v128, -v180
	v_add_f32_e32 v58, v59, v58
	v_fmamk_f32 v59, v112, 0xbf763a35, v66
	v_mul_f32_e32 v74, 0x3dbcf732, v133
	v_add_f32_e32 v50, v51, v50
	v_fma_f32 v51, 0xbf1a4643, v126, -v179
	v_mul_f32_e32 v132, 0x3f763a35, v123
	v_add_f32_e32 v58, v59, v58
	v_fmac_f32_e32 v182, 0x3ee437d1, v107
	v_mul_f32_e32 v136, 0x3f2c7751, v127
	v_add_f32_e32 v50, v51, v50
	v_fmac_f32_e32 v183, 0x3dbcf732, v109
	;; [unrolled: 3-line block ×3, first 2 shown]
	v_add_f32_e32 v50, v61, v50
	v_fma_f32 v61, 0xbf7ba420, v130, -v181
	v_mul_f32_e32 v138, 0xbf7ee86f, v131
	v_add_f32_e32 v51, v183, v51
	v_fmac_f32_e32 v185, 0x3f6eb680, v113
	v_mul_f32_e32 v139, 0xbf59a7d5, v135
	v_add_f32_e32 v50, v61, v50
	v_fma_f32 v61, 0x3f3d2fb0, v133, -v67
	v_mul_f32_e32 v67, 0x3f3d2fb0, v128
	v_add_f32_e32 v51, v184, v51
	v_fmac_f32_e32 v186, 0xbf7ba420, v116
	v_mul_f32_e32 v140, 0xbf06c442, v134
	v_fmac_f32_e32 v187, 0x3f3d2fb0, v120
	v_fmamk_f32 v59, v114, 0xbf2c7751, v67
	v_add_f32_e32 v51, v185, v51
	v_mul_f32_e32 v141, 0x3dbcf732, v117
	v_add_f32_e32 v50, v61, v50
	v_fmac_f32_e32 v189, 0xbe8c1d8e, v124
	v_add_f32_e32 v58, v59, v58
	v_fmamk_f32 v59, v107, 0xbf1a4643, v68
	v_add_f32_e32 v51, v186, v51
	v_mul_f32_e32 v142, 0xbf1a4643, v122
	v_mul_f32_e32 v143, 0xbf7ba420, v126
	;; [unrolled: 1-line block ×3, first 2 shown]
	v_add_f32_e32 v59, v59, v69
	v_mul_f32_e32 v69, 0x3f6eb680, v130
	v_add_f32_e32 v61, v187, v51
	v_fma_f32 v51, 0xbe8c1d8e, v135, -v188
	v_mul_f32_e32 v145, 0xbf7ee86f, v115
	v_mul_f32_e32 v146, 0xbf4c4adb, v119
	v_fmamk_f32 v60, v118, 0x3eb8f4ab, v69
	v_mul_f32_e32 v147, 0x3ee437d1, v133
	v_add_f32_e32 v51, v51, v50
	v_add_f32_e32 v50, v189, v61
	v_fmamk_f32 v61, v110, 0x3f4c4adb, v142
	v_add_f32_e32 v58, v60, v58
	v_fmamk_f32 v60, v109, 0xbf7ba420, v73
	v_mul_f32_e32 v148, 0xbe3c28d5, v123
	v_mul_f32_e32 v149, 0x3f06c442, v127
	;; [unrolled: 1-line block ×4, first 2 shown]
	v_add_f32_e32 v59, v60, v59
	v_fmamk_f32 v60, v121, 0x3f7ee86f, v74
	v_mul_f32_e32 v152, 0x3f6eb680, v135
	v_fmac_f32_e32 v64, 0xbf4c4adb, v108
	v_mul_f32_e32 v153, 0x3eb8f4ab, v134
	v_fmac_f32_e32 v65, 0x3e3c28d5, v110
	v_add_f32_e32 v58, v60, v58
	v_fmamk_f32 v60, v111, 0xbe8c1d8e, v132
	v_add_f32_e32 v64, v64, v171
	v_mul_f32_e32 v117, 0x3f3d2fb0, v117
	v_fmac_f32_e32 v66, 0x3f763a35, v112
	v_mul_f32_e32 v122, 0x3ee437d1, v122
	v_add_f32_e32 v59, v60, v59
	v_fmamk_f32 v60, v113, 0x3f3d2fb0, v136
	v_add_f32_e32 v64, v65, v64
	v_fma_f32 v65, 0xbf1a4643, v107, -v68
	v_fmamk_f32 v63, v110, 0x3f65296c, v122
	v_mul_f32_e32 v126, 0x3dbcf732, v126
	v_add_f32_e32 v59, v60, v59
	v_fmamk_f32 v60, v116, 0x3f6eb680, v137
	v_add_f32_e32 v64, v66, v64
	v_add_f32_e32 v65, v65, v172
	v_fma_f32 v66, 0xbf7ba420, v109, -v73
	v_mul_f32_e32 v128, 0xbe8c1d8e, v128
	v_add_f32_e32 v59, v60, v59
	v_fmamk_f32 v60, v120, 0x3dbcf732, v138
	v_fmac_f32_e32 v67, 0x3f2c7751, v114
	v_add_f32_e32 v65, v66, v65
	v_fma_f32 v66, 0xbe8c1d8e, v111, -v132
	v_fmac_f32_e32 v69, 0xbeb8f4ab, v118
	v_add_f32_e32 v60, v60, v59
	v_fmamk_f32 v59, v125, 0x3f06c442, v139
	v_add_f32_e32 v64, v67, v64
	v_add_f32_e32 v65, v66, v65
	v_fma_f32 v66, 0x3f3d2fb0, v113, -v136
	v_mul_f32_e32 v115, 0xbf2c7751, v115
	v_add_f32_e32 v59, v59, v58
	v_fmamk_f32 v58, v124, 0xbf59a7d5, v140
	v_add_f32_e32 v64, v69, v64
	v_add_f32_e32 v65, v66, v65
	v_fma_f32 v66, 0x3f6eb680, v116, -v137
	v_fmac_f32_e32 v74, 0xbf7ee86f, v121
	v_add_f32_e32 v58, v58, v60
	v_fmamk_f32 v60, v108, 0x3f7ee86f, v141
	v_fmac_f32_e32 v139, 0xbf06c442, v125
	v_add_f32_e32 v65, v66, v65
	v_fma_f32 v66, 0x3dbcf732, v120, -v138
	v_add_f32_e32 v64, v74, v64
	v_add_f32_e32 v60, v60, v169
	v_fma_f32 v67, 0xbf59a7d5, v124, -v140
	v_fmac_f32_e32 v141, 0xbf7ee86f, v108
	v_add_f32_e32 v66, v66, v65
	v_add_f32_e32 v65, v139, v64
	;; [unrolled: 1-line block ×3, first 2 shown]
	v_fmamk_f32 v61, v112, 0x3e3c28d5, v143
	v_fmac_f32_e32 v142, 0xbf4c4adb, v110
	v_add_f32_e32 v64, v67, v66
	v_add_f32_e32 v66, v141, v173
	v_mul_f32_e32 v119, 0xbf65296c, v119
	v_add_f32_e32 v60, v61, v60
	v_fmamk_f32 v61, v114, 0xbf06c442, v144
	v_fmac_f32_e32 v143, 0xbe3c28d5, v112
	v_add_f32_e32 v66, v142, v66
	v_mul_f32_e32 v123, 0xbf7ee86f, v123
	v_fmac_f32_e32 v144, 0x3f06c442, v114
	v_add_f32_e32 v60, v61, v60
	v_fmamk_f32 v61, v107, 0x3dbcf732, v145
	v_add_f32_e32 v66, v143, v66
	v_fma_f32 v67, 0x3dbcf732, v107, -v145
	v_mul_f32_e32 v127, 0xbf763a35, v127
	v_fma_f32 v68, 0x3f3d2fb0, v107, -v115
	v_add_f32_e32 v61, v61, v70
	v_mul_f32_e32 v70, 0xbe8c1d8e, v130
	v_mul_f32_e32 v130, 0xbf1a4643, v130
	v_add_f32_e32 v66, v144, v66
	v_add_f32_e32 v67, v67, v174
	v_fma_f32 v69, 0xbf1a4643, v109, -v146
	v_fmamk_f32 v62, v118, 0xbf763a35, v70
	v_fmac_f32_e32 v70, 0x3f763a35, v118
	v_mul_f32_e32 v129, 0xbf4c4adb, v129
	v_fmac_f32_e32 v122, 0xbf65296c, v110
	v_add_f32_e32 v67, v69, v67
	v_add_f32_e32 v60, v62, v60
	v_fmamk_f32 v62, v109, 0xbf1a4643, v146
	v_add_f32_e32 v66, v70, v66
	v_add_f32_e32 v68, v68, v176
	v_fma_f32 v70, 0x3ee437d1, v109, -v119
	v_fma_f32 v73, 0xbf7ba420, v111, -v148
	v_add_f32_e32 v61, v62, v61
	v_fmamk_f32 v62, v121, 0xbf65296c, v147
	v_mul_f32_e32 v131, 0xbf06c442, v131
	v_add_f32_e32 v68, v70, v68
	v_add_f32_e32 v67, v73, v67
	v_fma_f32 v73, 0xbf59a7d5, v113, -v149
	v_add_f32_e32 v60, v62, v60
	v_fmamk_f32 v62, v111, 0xbf7ba420, v148
	v_fma_f32 v70, 0x3dbcf732, v111, -v123
	v_mul_f32_e32 v135, 0xbf7ba420, v135
	v_add_f32_e32 v67, v73, v67
	v_fma_f32 v73, 0xbe8c1d8e, v116, -v150
	v_add_f32_e32 v61, v62, v61
	v_fmamk_f32 v62, v113, 0xbf59a7d5, v149
	v_add_f32_e32 v68, v70, v68
	v_fma_f32 v70, 0xbe8c1d8e, v113, -v127
	v_mul_f32_e32 v134, 0xbe3c28d5, v134
	v_add_f32_e32 v67, v73, v67
	v_add_f32_e32 v61, v62, v61
	v_fmamk_f32 v62, v116, 0xbe8c1d8e, v150
	v_fma_f32 v73, 0x3ee437d1, v120, -v151
	v_add_f32_e32 v68, v70, v68
	v_fma_f32 v70, 0xbf1a4643, v116, -v129
	v_fmac_f32_e32 v147, 0x3f65296c, v121
	v_add_f32_e32 v61, v62, v61
	v_fmamk_f32 v62, v120, 0x3ee437d1, v151
	v_add_f32_e32 v73, v73, v67
	v_add_f32_e32 v68, v70, v68
	v_mul_lo_u16 v70, v96, 17
	v_add_f32_e32 v66, v147, v66
	v_add_f32_e32 v62, v62, v61
	v_fmamk_f32 v61, v125, 0xbeb8f4ab, v152
	v_fmac_f32_e32 v152, 0x3eb8f4ab, v125
	v_fma_f32 v74, 0x3f6eb680, v124, -v153
	v_add_f32_e32 v46, v46, v199
	v_add_f32_e32 v61, v61, v60
	v_fmamk_f32 v60, v124, 0x3f6eb680, v153
	v_add_f32_e32 v60, v60, v62
	v_fmamk_f32 v62, v108, 0x3f2c7751, v117
	v_fmac_f32_e32 v117, 0xbf2c7751, v108
	v_fma_f32 v108, 0xbf7ba420, v124, -v134
	v_add_f32_e32 v62, v62, v170
	v_add_f32_e32 v69, v117, v175
	;; [unrolled: 1-line block ×3, first 2 shown]
	v_fmamk_f32 v63, v112, 0x3f7ee86f, v126
	v_add_f32_e32 v69, v122, v69
	v_fmac_f32_e32 v126, 0xbf7ee86f, v112
	v_add_f32_e32 v62, v63, v62
	v_fmamk_f32 v63, v114, 0x3f763a35, v128
	v_add_f32_e32 v69, v126, v69
	v_fmac_f32_e32 v128, 0xbf763a35, v114
	v_add_f32_e32 v62, v63, v62
	;; [unrolled: 4-line block ×3, first 2 shown]
	v_fmamk_f32 v63, v107, 0x3f3d2fb0, v115
	v_add_f32_e32 v67, v130, v69
	v_fma_f32 v69, 0xbf59a7d5, v120, -v131
	v_mov_b32_e32 v107, 3
	v_add_f32_e32 v63, v63, v71
	v_mul_f32_e32 v71, 0xbf59a7d5, v133
	v_add_f32_e32 v68, v69, v68
	v_lshlrev_b32_sdwa v70, v107, v70 dst_sel:DWORD dst_unused:UNUSED_PAD src0_sel:DWORD src1_sel:WORD_0
	v_fmamk_f32 v133, v121, 0x3f06c442, v71
	v_fmac_f32_e32 v71, 0xbf06c442, v121
	v_add_f32_e32 v68, v108, v68
	v_add_f32_e32 v62, v133, v62
	v_fmamk_f32 v133, v109, 0x3ee437d1, v119
	v_add_f32_e32 v71, v71, v67
	v_add_f32_e32 v67, v152, v66
	;; [unrolled: 1-line block ×4, first 2 shown]
	v_fmamk_f32 v133, v111, 0x3dbcf732, v123
	v_add_f32_e32 v63, v133, v63
	v_fmamk_f32 v133, v113, 0xbe8c1d8e, v127
	v_add_f32_e32 v63, v133, v63
	;; [unrolled: 2-line block ×4, first 2 shown]
	v_fmamk_f32 v63, v125, 0x3e3c28d5, v135
	v_fmac_f32_e32 v135, 0xbe3c28d5, v125
	v_add_f32_e32 v63, v63, v62
	v_fmamk_f32 v62, v124, 0xbf7ba420, v134
	v_add_f32_e32 v69, v135, v71
	v_add_f32_e32 v62, v62, v133
	ds_write2_b64 v70, v[0:1], v[62:63] offset1:1
	ds_write2_b64 v70, v[60:61], v[58:59] offset0:2 offset1:3
	ds_write2_b64 v70, v[56:57], v[54:55] offset0:4 offset1:5
	;; [unrolled: 1-line block ×7, first 2 shown]
	ds_write_b64 v70, v[68:69] offset:128
.LBB0_17:
	s_or_b32 exec_lo, exec_lo, s1
	v_add_nc_u32_e32 v0, 0x1400, v97
	s_waitcnt lgkmcnt(0)
	s_barrier
	buffer_gl0_inv
	v_add_nc_u32_e32 v46, 0x1c00, v97
	ds_read2_b64 v[0:3], v0 offset0:74 offset1:193
	v_add_nc_u32_e32 v44, 0x2400, v97
	ds_read2_b64 v[47:50], v46 offset0:56 offset1:175
	ds_read2_b64 v[51:54], v44 offset0:38 offset1:157
	v_add_nc_u32_e32 v44, 0x400, v97
	v_add_nc_u32_e32 v71, 0xc00, v97
	ds_read2_b64 v[55:58], v97 offset1:119
	ds_read2_b64 v[59:62], v44 offset0:110 offset1:229
	ds_read2_b64 v[63:66], v71 offset0:92 offset1:211
	s_waitcnt lgkmcnt(0)
	s_barrier
	buffer_gl0_inv
	v_mul_f32_e32 v44, v80, v1
	v_mul_f32_e32 v45, v80, v0
	;; [unrolled: 1-line block ×5, first 2 shown]
	v_fmac_f32_e32 v44, v79, v0
	v_mul_f32_e32 v68, v84, v47
	v_mul_f32_e32 v73, v82, v50
	;; [unrolled: 1-line block ×7, first 2 shown]
	v_fma_f32 v0, v79, v1, -v45
	v_fmac_f32_e32 v69, v85, v2
	v_fma_f32 v1, v85, v3, -v67
	v_sub_f32_e32 v67, v55, v44
	v_fmac_f32_e32 v70, v83, v47
	v_fma_f32 v2, v83, v48, -v68
	v_fmac_f32_e32 v73, v81, v49
	v_fma_f32 v3, v81, v50, -v74
	;; [unrolled: 2-line block ×3, first 2 shown]
	v_sub_f32_e32 v68, v56, v0
	v_fmac_f32_e32 v82, v75, v53
	v_fma_f32 v45, v75, v54, -v76
	v_fma_f32 v52, v55, 2.0, -v67
	v_sub_f32_e32 v54, v57, v69
	v_sub_f32_e32 v55, v58, v1
	;; [unrolled: 1-line block ×8, first 2 shown]
	v_fma_f32 v53, v56, 2.0, -v68
	v_sub_f32_e32 v44, v65, v82
	v_sub_f32_e32 v45, v66, v45
	v_fma_f32 v56, v57, 2.0, -v54
	v_fma_f32 v57, v58, 2.0, -v55
	;; [unrolled: 1-line block ×4, first 2 shown]
	v_add_nc_u32_e32 v47, 0x1800, v97
	v_fma_f32 v60, v61, 2.0, -v0
	v_fma_f32 v61, v62, 2.0, -v1
	;; [unrolled: 1-line block ×6, first 2 shown]
	ds_write2_b64 v104, v[52:53], v[67:68] offset1:17
	ds_write2_b64 v105, v[56:57], v[54:55] offset1:17
	;; [unrolled: 1-line block ×6, first 2 shown]
	s_waitcnt lgkmcnt(0)
	s_barrier
	buffer_gl0_inv
	ds_read2_b64 v[52:55], v97 offset1:204
	ds_read2_b64 v[60:63], v71 offset0:24 offset1:228
	ds_read2_b64 v[56:59], v47 offset0:48 offset1:252
	ds_read_b64 v[64:65], v97 offset:9792
	s_and_saveexec_b32 s1, s0
	s_cbranch_execz .LBB0_19
; %bb.18:
	v_add_nc_u32_e32 v0, 0x300, v97
	ds_read2_b64 v[44:47], v46 offset0:39 offset1:243
	v_add_nc_u32_e32 v48, 0x1000, v97
	ds_read_b64 v[93:94], v97 offset:10744
	ds_read2_b64 v[0:3], v0 offset0:23 offset1:227
	ds_read2_b64 v[48:51], v48 offset0:15 offset1:219
	s_waitcnt lgkmcnt(3)
	v_mov_b32_e32 v91, v46
	v_mov_b32_e32 v92, v47
.LBB0_19:
	s_or_b32 exec_lo, exec_lo, s1
	s_waitcnt lgkmcnt(3)
	v_mul_f32_e32 v46, v25, v55
	v_mul_f32_e32 v25, v25, v54
	s_waitcnt lgkmcnt(2)
	v_mul_f32_e32 v47, v27, v61
	v_mul_f32_e32 v27, v27, v60
	s_waitcnt lgkmcnt(0)
	v_fmac_f32_e32 v46, v24, v54
	v_fma_f32 v24, v24, v55, -v25
	v_mul_f32_e32 v25, v21, v63
	v_mul_f32_e32 v21, v21, v62
	v_fmac_f32_e32 v47, v26, v60
	v_fma_f32 v26, v26, v61, -v27
	v_mul_f32_e32 v27, v17, v59
	v_fmac_f32_e32 v25, v20, v62
	v_fma_f32 v20, v20, v63, -v21
	v_mul_f32_e32 v21, v19, v65
	v_mul_f32_e32 v19, v19, v64
	;; [unrolled: 1-line block ×5, first 2 shown]
	v_fmac_f32_e32 v21, v18, v64
	v_fma_f32 v18, v18, v65, -v19
	v_fmac_f32_e32 v27, v16, v58
	v_fma_f32 v16, v16, v59, -v17
	;; [unrolled: 2-line block ×3, first 2 shown]
	v_add_f32_e32 v17, v46, v21
	v_add_f32_e32 v22, v24, v18
	v_sub_f32_e32 v18, v24, v18
	v_add_f32_e32 v23, v47, v27
	v_add_f32_e32 v24, v26, v16
	v_sub_f32_e32 v21, v46, v21
	v_sub_f32_e32 v27, v47, v27
	;; [unrolled: 1-line block ×3, first 2 shown]
	v_add_f32_e32 v26, v25, v54
	v_add_f32_e32 v46, v20, v19
	v_sub_f32_e32 v25, v54, v25
	v_sub_f32_e32 v19, v19, v20
	v_add_f32_e32 v20, v23, v17
	v_add_f32_e32 v47, v24, v22
	v_sub_f32_e32 v54, v23, v17
	v_sub_f32_e32 v55, v24, v22
	;; [unrolled: 1-line block ×6, first 2 shown]
	v_add_f32_e32 v17, v25, v27
	v_add_f32_e32 v57, v19, v16
	v_sub_f32_e32 v58, v25, v27
	v_sub_f32_e32 v59, v19, v16
	v_add_f32_e32 v20, v26, v20
	v_add_f32_e32 v26, v46, v47
	v_sub_f32_e32 v27, v27, v21
	v_sub_f32_e32 v46, v16, v18
	;; [unrolled: 1-line block ×4, first 2 shown]
	v_add_f32_e32 v21, v17, v21
	v_add_f32_e32 v18, v57, v18
	;; [unrolled: 1-line block ×4, first 2 shown]
	v_mul_f32_e32 v47, 0x3f4a47b2, v56
	v_mul_f32_e32 v22, 0x3f4a47b2, v22
	;; [unrolled: 1-line block ×8, first 2 shown]
	v_fmamk_f32 v20, v20, 0xbf955555, v16
	v_fmamk_f32 v26, v26, 0xbf955555, v17
	;; [unrolled: 1-line block ×4, first 2 shown]
	v_fma_f32 v52, 0x3f3bfb3b, v54, -v52
	v_fma_f32 v53, 0x3f3bfb3b, v55, -v53
	;; [unrolled: 1-line block ×4, first 2 shown]
	v_fmamk_f32 v54, v25, 0xbeae86e6, v56
	v_fmamk_f32 v55, v19, 0xbeae86e6, v57
	v_fma_f32 v27, 0xbf5ff5aa, v27, -v56
	v_fma_f32 v46, 0xbf5ff5aa, v46, -v57
	;; [unrolled: 1-line block ×4, first 2 shown]
	v_add_f32_e32 v58, v23, v20
	v_add_f32_e32 v59, v24, v26
	v_fmac_f32_e32 v54, 0xbee1c552, v21
	v_fmac_f32_e32 v55, 0xbee1c552, v18
	v_add_f32_e32 v24, v52, v20
	v_add_f32_e32 v25, v53, v26
	;; [unrolled: 1-line block ×4, first 2 shown]
	v_fmac_f32_e32 v27, 0xbee1c552, v21
	v_fmac_f32_e32 v57, 0xbee1c552, v18
	;; [unrolled: 1-line block ×4, first 2 shown]
	v_add_f32_e32 v18, v55, v58
	v_sub_f32_e32 v19, v59, v54
	v_add_f32_e32 v20, v57, v47
	v_sub_f32_e32 v21, v52, v56
	v_sub_f32_e32 v22, v24, v46
	v_add_f32_e32 v23, v27, v25
	v_add_f32_e32 v24, v46, v24
	v_sub_f32_e32 v25, v25, v27
	v_sub_f32_e32 v26, v47, v57
	v_add_f32_e32 v27, v56, v52
	v_sub_f32_e32 v46, v58, v55
	v_add_f32_e32 v47, v54, v59
	s_barrier
	buffer_gl0_inv
	ds_write2_b64 v106, v[16:17], v[18:19] offset1:34
	ds_write2_b64 v106, v[20:21], v[22:23] offset0:68 offset1:102
	ds_write2_b64 v106, v[24:25], v[26:27] offset0:136 offset1:170
	ds_write_b64 v106, v[46:47] offset:1632
	s_and_saveexec_b32 s1, s0
	s_cbranch_execz .LBB0_21
; %bb.20:
	v_mul_f32_e32 v18, v13, v3
	v_mul_f32_e32 v16, v7, v45
	;; [unrolled: 1-line block ×6, first 2 shown]
	v_fmac_f32_e32 v18, v12, v2
	v_mul_f32_e32 v2, v13, v2
	v_mul_f32_e32 v13, v9, v92
	v_fmac_f32_e32 v16, v6, v44
	v_fmac_f32_e32 v17, v4, v50
	;; [unrolled: 1-line block ×4, first 2 shown]
	v_fma_f32 v10, v10, v94, -v11
	v_mul_f32_e32 v9, v9, v91
	v_mul_f32_e32 v11, v15, v48
	v_fmac_f32_e32 v13, v8, v91
	v_sub_f32_e32 v21, v16, v17
	v_fma_f32 v2, v12, v3, -v2
	v_mul_f32_e32 v3, v5, v50
	v_mul_f32_e32 v5, v7, v44
	v_fma_f32 v7, v8, v92, -v9
	v_fma_f32 v9, v14, v49, -v11
	v_sub_f32_e32 v11, v20, v13
	v_sub_f32_e32 v12, v18, v19
	v_add_f32_e32 v18, v19, v18
	v_add_f32_e32 v13, v13, v20
	v_fma_f32 v4, v4, v51, -v3
	v_fma_f32 v5, v6, v45, -v5
	v_add_f32_e32 v6, v10, v2
	v_add_f32_e32 v8, v7, v9
	v_sub_f32_e32 v15, v21, v11
	v_sub_f32_e32 v23, v12, v21
	v_add_f32_e32 v21, v21, v11
	v_add_f32_e32 v16, v16, v17
	;; [unrolled: 1-line block ×3, first 2 shown]
	v_sub_f32_e32 v11, v11, v12
	v_add_f32_e32 v3, v5, v4
	v_add_f32_e32 v14, v8, v6
	v_mul_f32_e32 v15, 0x3f08b237, v15
	v_sub_f32_e32 v19, v18, v16
	v_sub_f32_e32 v4, v5, v4
	;; [unrolled: 1-line block ×4, first 2 shown]
	v_add_f32_e32 v16, v16, v20
	v_sub_f32_e32 v2, v2, v10
	v_mul_f32_e32 v20, 0xbf5ff5aa, v11
	v_sub_f32_e32 v22, v6, v3
	v_add_f32_e32 v14, v3, v14
	v_sub_f32_e32 v3, v3, v8
	v_fmamk_f32 v24, v23, 0xbeae86e6, v15
	v_add_f32_e32 v21, v21, v12
	v_sub_f32_e32 v10, v4, v5
	v_sub_f32_e32 v12, v2, v4
	v_add_f32_e32 v4, v4, v5
	v_fma_f32 v20, 0x3eae86e6, v23, -v20
	v_sub_f32_e32 v23, v5, v2
	v_mul_f32_e32 v22, 0x3f4a47b2, v22
	v_mul_f32_e32 v17, 0x3d64c772, v3
	v_add_f32_e32 v0, v0, v16
	v_mul_f32_e32 v10, 0x3f08b237, v10
	v_sub_f32_e32 v6, v8, v6
	v_add_f32_e32 v2, v4, v2
	v_mul_f32_e32 v4, 0xbf5ff5aa, v23
	v_add_f32_e32 v1, v1, v14
	v_mul_f32_e32 v9, 0x3f4a47b2, v19
	v_fmamk_f32 v25, v3, 0x3d64c772, v22
	v_fmamk_f32 v8, v16, 0xbf955555, v0
	;; [unrolled: 1-line block ×3, first 2 shown]
	v_fma_f32 v22, 0xbf3bfb3b, v6, -v22
	v_fma_f32 v26, 0x3eae86e6, v12, -v4
	;; [unrolled: 1-line block ×5, first 2 shown]
	v_fmamk_f32 v14, v14, 0xbf955555, v1
	v_mul_f32_e32 v19, 0x3d64c772, v7
	v_fmamk_f32 v7, v7, 0x3d64c772, v9
	v_sub_f32_e32 v13, v13, v18
	v_fmac_f32_e32 v16, 0xbee1c552, v2
	v_fmac_f32_e32 v26, 0xbee1c552, v2
	;; [unrolled: 1-line block ×3, first 2 shown]
	v_mov_b32_e32 v2, 0xee
	v_add_f32_e32 v18, v22, v14
	v_fma_f32 v9, 0xbf3bfb3b, v13, -v9
	v_add_f32_e32 v22, v7, v8
	v_fma_f32 v7, 0x3f3bfb3b, v13, -v19
	v_fmac_f32_e32 v24, 0xbee1c552, v21
	v_add_f32_e32 v25, v25, v14
	v_mul_u32_u24_sdwa v2, v98, v2 dst_sel:DWORD dst_unused:UNUSED_PAD src0_sel:WORD_0 src1_sel:DWORD
	v_fmac_f32_e32 v20, 0xbee1c552, v21
	v_add_f32_e32 v27, v9, v8
	v_add_f32_e32 v9, v4, v14
	v_fmac_f32_e32 v6, 0xbee1c552, v21
	v_add_f32_e32 v14, v7, v8
	v_sub_f32_e32 v13, v25, v24
	v_add_f32_e32 v12, v16, v22
	v_add_lshl_u32 v17, v2, v99, 3
	v_sub_f32_e32 v7, v9, v6
	v_add_f32_e32 v9, v6, v9
	v_sub_f32_e32 v8, v14, v15
	v_sub_f32_e32 v11, v18, v20
	v_add_f32_e32 v10, v26, v27
	v_add_f32_e32 v5, v20, v18
	v_sub_f32_e32 v4, v27, v26
	v_add_f32_e32 v6, v15, v14
	v_add_f32_e32 v3, v24, v25
	v_sub_f32_e32 v2, v22, v16
	ds_write2_b64 v17, v[0:1], v[12:13] offset1:34
	ds_write2_b64 v17, v[10:11], v[8:9] offset0:68 offset1:102
	ds_write2_b64 v17, v[6:7], v[4:5] offset0:136 offset1:170
	ds_write_b64 v17, v[2:3] offset:1632
.LBB0_21:
	s_or_b32 exec_lo, exec_lo, s1
	v_add_nc_u32_e32 v24, 0x400, v97
	v_add_nc_u32_e32 v25, 0xc00, v97
	;; [unrolled: 1-line block ×5, first 2 shown]
	s_waitcnt lgkmcnt(0)
	s_barrier
	buffer_gl0_inv
	ds_read2_b64 v[0:3], v24 offset0:110 offset1:229
	ds_read2_b64 v[4:7], v25 offset0:92 offset1:211
	;; [unrolled: 1-line block ×5, first 2 shown]
	ds_read2_b64 v[20:23], v97 offset1:119
	s_waitcnt lgkmcnt(3)
	v_mul_f32_e32 v47, v29, v9
	v_mul_f32_e32 v45, v33, v1
	;; [unrolled: 1-line block ×5, first 2 shown]
	s_waitcnt lgkmcnt(2)
	v_mul_f32_e32 v48, v31, v13
	v_mul_f32_e32 v31, v31, v12
	v_fmac_f32_e32 v45, v32, v0
	v_fma_f32 v0, v32, v1, -v33
	v_fma_f32 v1, v34, v5, -v35
	v_mul_f32_e32 v29, v29, v8
	v_fma_f32 v5, v30, v13, -v31
	v_mul_f32_e32 v13, v41, v3
	v_fmac_f32_e32 v47, v28, v8
	v_mul_f32_e32 v8, v41, v2
	s_waitcnt lgkmcnt(1)
	v_mul_f32_e32 v49, v88, v17
	v_fmac_f32_e32 v46, v34, v4
	v_fmac_f32_e32 v13, v40, v2
	v_mul_f32_e32 v2, v43, v6
	v_fma_f32 v4, v28, v9, -v29
	v_fmac_f32_e32 v48, v30, v12
	v_mul_f32_e32 v29, v39, v15
	v_mul_f32_e32 v50, v88, v16
	v_fma_f32 v28, v42, v7, -v2
	v_mul_f32_e32 v2, v39, v14
	v_fmac_f32_e32 v49, v87, v16
	v_fma_f32 v16, v40, v3, -v8
	v_mul_f32_e32 v3, v37, v10
	v_fmac_f32_e32 v29, v38, v14
	v_fma_f32 v14, v38, v15, -v2
	v_add_f32_e32 v2, v46, v48
	v_fma_f32 v9, v87, v17, -v50
	v_mul_f32_e32 v12, v43, v7
	v_fma_f32 v30, v36, v11, -v3
	v_mul_f32_e32 v3, v90, v18
	s_waitcnt lgkmcnt(0)
	v_fma_f32 v7, -0.5, v2, v20
	v_sub_f32_e32 v2, v1, v5
	v_mul_f32_e32 v31, v90, v19
	v_mul_f32_e32 v17, v37, v11
	v_fma_f32 v15, v89, v19, -v3
	v_add_f32_e32 v3, v1, v5
	v_add_f32_e32 v1, v21, v1
	v_fmamk_f32 v8, v2, 0xbf5db3d7, v7
	v_fmac_f32_e32 v7, 0x3f5db3d7, v2
	v_add_f32_e32 v2, v4, v9
	v_fmac_f32_e32 v31, v89, v18
	v_fma_f32 v11, -0.5, v3, v21
	v_sub_f32_e32 v3, v46, v48
	v_add_f32_e32 v18, v1, v5
	v_add_f32_e32 v1, v47, v49
	;; [unrolled: 1-line block ×3, first 2 shown]
	v_fmac_f32_e32 v0, -0.5, v2
	v_sub_f32_e32 v2, v47, v49
	v_fmac_f32_e32 v17, v36, v10
	v_fmamk_f32 v19, v3, 0x3f5db3d7, v11
	v_add_f32_e32 v10, v45, v47
	v_fmac_f32_e32 v45, -0.5, v1
	v_sub_f32_e32 v1, v4, v9
	v_fmac_f32_e32 v11, 0xbf5db3d7, v3
	v_fmamk_f32 v3, v2, 0x3f5db3d7, v0
	v_fmac_f32_e32 v0, 0xbf5db3d7, v2
	v_fmac_f32_e32 v12, v42, v6
	v_add_f32_e32 v6, v20, v46
	v_fmamk_f32 v2, v1, 0xbf5db3d7, v45
	v_fmac_f32_e32 v45, 0x3f5db3d7, v1
	v_mul_f32_e32 v21, 0xbf5db3d7, v0
	v_add_f32_e32 v10, v10, v49
	v_add_f32_e32 v6, v6, v48
	v_mul_f32_e32 v20, 0xbf5db3d7, v3
	v_add_f32_e32 v9, v5, v9
	v_fmac_f32_e32 v21, -0.5, v45
	v_mul_f32_e32 v32, 0.5, v3
	v_mul_f32_e32 v33, -0.5, v0
	v_fmac_f32_e32 v20, 0.5, v2
	v_add_f32_e32 v0, v6, v10
	v_add_f32_e32 v4, v7, v21
	;; [unrolled: 1-line block ×3, first 2 shown]
	v_sub_f32_e32 v6, v6, v10
	v_sub_f32_e32 v10, v7, v21
	;; [unrolled: 1-line block ×3, first 2 shown]
	v_add_f32_e32 v18, v12, v29
	v_fmac_f32_e32 v32, 0x3f5db3d7, v2
	v_add_f32_e32 v2, v8, v20
	v_sub_f32_e32 v8, v8, v20
	v_add_f32_e32 v20, v28, v14
	v_fma_f32 v21, -0.5, v18, v22
	v_sub_f32_e32 v18, v28, v14
	v_add_f32_e32 v3, v19, v32
	v_sub_f32_e32 v9, v19, v32
	v_add_f32_e32 v19, v22, v12
	v_add_f32_e32 v22, v23, v28
	v_fmac_f32_e32 v23, -0.5, v20
	v_fmamk_f32 v20, v18, 0xbf5db3d7, v21
	v_fmac_f32_e32 v21, 0x3f5db3d7, v18
	v_add_f32_e32 v18, v30, v15
	v_sub_f32_e32 v12, v12, v29
	v_add_f32_e32 v28, v22, v14
	v_add_f32_e32 v14, v17, v31
	;; [unrolled: 1-line block ×3, first 2 shown]
	v_fmac_f32_e32 v16, -0.5, v18
	v_sub_f32_e32 v18, v17, v31
	v_fmac_f32_e32 v33, 0x3f5db3d7, v45
	v_add_f32_e32 v19, v19, v29
	v_fmamk_f32 v29, v12, 0x3f5db3d7, v23
	v_add_f32_e32 v17, v13, v17
	v_fmac_f32_e32 v13, -0.5, v14
	v_sub_f32_e32 v14, v30, v15
	v_fmac_f32_e32 v23, 0xbf5db3d7, v12
	v_fmamk_f32 v12, v18, 0x3f5db3d7, v16
	v_fmac_f32_e32 v16, 0xbf5db3d7, v18
	v_add_f32_e32 v5, v11, v33
	v_sub_f32_e32 v11, v11, v33
	v_add_f32_e32 v18, v17, v31
	v_fmamk_f32 v17, v14, 0xbf5db3d7, v13
	v_mul_f32_e32 v30, 0xbf5db3d7, v12
	v_mul_f32_e32 v33, 0.5, v12
	v_fmac_f32_e32 v13, 0x3f5db3d7, v14
	v_mul_f32_e32 v31, 0xbf5db3d7, v16
	v_mul_f32_e32 v34, -0.5, v16
	v_add_f32_e32 v32, v22, v15
	v_fmac_f32_e32 v30, 0.5, v17
	v_fmac_f32_e32 v33, 0x3f5db3d7, v17
	v_fmac_f32_e32 v31, -0.5, v13
	v_fmac_f32_e32 v34, 0x3f5db3d7, v13
	v_add_f32_e32 v12, v19, v18
	v_add_f32_e32 v13, v28, v32
	;; [unrolled: 1-line block ×6, first 2 shown]
	v_sub_f32_e32 v18, v19, v18
	v_sub_f32_e32 v19, v28, v32
	;; [unrolled: 1-line block ×6, first 2 shown]
	ds_write2_b64 v97, v[0:1], v[12:13] offset1:119
	ds_write2_b64 v24, v[2:3], v[14:15] offset0:110 offset1:229
	ds_write2_b64 v25, v[4:5], v[16:17] offset0:92 offset1:211
	;; [unrolled: 1-line block ×5, first 2 shown]
	s_waitcnt lgkmcnt(0)
	s_barrier
	buffer_gl0_inv
	s_and_b32 exec_lo, exec_lo, vcc_lo
	s_cbranch_execz .LBB0_23
; %bb.22:
	global_load_dwordx2 v[0:1], v95, s[12:13]
	ds_read_b64 v[2:3], v97
	s_mov_b32 s0, 0x16f26017
	s_mov_b32 s1, 0x3f46f260
	v_mad_u64_u32 v[6:7], null, s4, v96, 0
	s_mul_i32 s2, s5, 0x2a0
	s_mul_i32 s3, s4, 0x2a0
	s_waitcnt vmcnt(0) lgkmcnt(0)
	v_mul_f32_e32 v4, v3, v1
	v_mul_f32_e32 v1, v2, v1
	v_fmac_f32_e32 v4, v2, v0
	v_fma_f32 v2, v0, v3, -v1
	v_cvt_f64_f32_e32 v[0:1], v4
	v_cvt_f64_f32_e32 v[2:3], v2
	v_mad_u64_u32 v[4:5], null, s6, v72, 0
	v_mad_u64_u32 v[8:9], null, s7, v72, v[5:6]
	;; [unrolled: 1-line block ×3, first 2 shown]
	v_mov_b32_e32 v5, v8
	s_mul_hi_u32 s5, s4, 0x2a0
	v_mul_f64 v[0:1], v[0:1], s[0:1]
	v_mul_f64 v[2:3], v[2:3], s[0:1]
	s_add_i32 s2, s5, s2
	v_add_co_u32 v10, s4, s12, v95
	v_mov_b32_e32 v7, v9
	v_add_co_ci_u32_e64 v11, null, s13, 0, s4
	v_cvt_f32_f64_e32 v0, v[0:1]
	v_cvt_f32_f64_e32 v1, v[2:3]
	v_lshlrev_b64 v[2:3], 3, v[4:5]
	v_lshlrev_b64 v[4:5], 3, v[6:7]
	v_add_co_u32 v2, vcc_lo, s14, v2
	v_add_co_ci_u32_e32 v3, vcc_lo, s15, v3, vcc_lo
	v_add_co_u32 v4, vcc_lo, v2, v4
	v_add_co_ci_u32_e32 v5, vcc_lo, v3, v5, vcc_lo
	global_store_dwordx2 v[4:5], v[0:1], off
	global_load_dwordx2 v[6:7], v95, s[12:13] offset:672
	ds_read2_b64 v[0:3], v95 offset0:84 offset1:168
	v_add_co_u32 v4, vcc_lo, v4, s3
	v_add_co_ci_u32_e32 v5, vcc_lo, s2, v5, vcc_lo
	s_waitcnt vmcnt(0) lgkmcnt(0)
	v_mul_f32_e32 v8, v1, v7
	v_mul_f32_e32 v7, v0, v7
	v_fmac_f32_e32 v8, v0, v6
	v_fma_f32 v6, v6, v1, -v7
	v_cvt_f64_f32_e32 v[0:1], v8
	v_cvt_f64_f32_e32 v[6:7], v6
	v_mul_f64 v[0:1], v[0:1], s[0:1]
	v_mul_f64 v[6:7], v[6:7], s[0:1]
	v_cvt_f32_f64_e32 v0, v[0:1]
	v_cvt_f32_f64_e32 v1, v[6:7]
	global_store_dwordx2 v[4:5], v[0:1], off
	global_load_dwordx2 v[0:1], v95, s[12:13] offset:1344
	v_add_co_u32 v4, vcc_lo, v4, s3
	v_add_co_ci_u32_e32 v5, vcc_lo, s2, v5, vcc_lo
	s_waitcnt vmcnt(0)
	v_mul_f32_e32 v6, v3, v1
	v_mul_f32_e32 v1, v2, v1
	v_fmac_f32_e32 v6, v2, v0
	v_fma_f32 v2, v0, v3, -v1
	v_cvt_f64_f32_e32 v[0:1], v6
	v_cvt_f64_f32_e32 v[2:3], v2
	v_mul_f64 v[0:1], v[0:1], s[0:1]
	v_mul_f64 v[2:3], v[2:3], s[0:1]
	v_cvt_f32_f64_e32 v0, v[0:1]
	v_cvt_f32_f64_e32 v1, v[2:3]
	global_store_dwordx2 v[4:5], v[0:1], off
	global_load_dwordx2 v[6:7], v95, s[12:13] offset:2016
	v_add_nc_u32_e32 v0, 0x400, v95
	v_add_co_u32 v4, vcc_lo, v4, s3
	v_add_co_ci_u32_e32 v5, vcc_lo, s2, v5, vcc_lo
	ds_read2_b64 v[0:3], v0 offset0:124 offset1:208
	s_waitcnt vmcnt(0) lgkmcnt(0)
	v_mul_f32_e32 v8, v1, v7
	v_mul_f32_e32 v7, v0, v7
	v_fmac_f32_e32 v8, v0, v6
	v_fma_f32 v6, v6, v1, -v7
	v_cvt_f64_f32_e32 v[0:1], v8
	v_cvt_f64_f32_e32 v[6:7], v6
	v_mul_f64 v[0:1], v[0:1], s[0:1]
	v_mul_f64 v[6:7], v[6:7], s[0:1]
	v_cvt_f32_f64_e32 v0, v[0:1]
	v_cvt_f32_f64_e32 v1, v[6:7]
	v_add_co_u32 v6, vcc_lo, 0x800, v10
	v_add_co_ci_u32_e32 v7, vcc_lo, 0, v11, vcc_lo
	global_store_dwordx2 v[4:5], v[0:1], off
	global_load_dwordx2 v[0:1], v[6:7], off offset:640
	v_add_co_u32 v4, vcc_lo, v4, s3
	v_add_co_ci_u32_e32 v5, vcc_lo, s2, v5, vcc_lo
	s_waitcnt vmcnt(0)
	v_mul_f32_e32 v8, v3, v1
	v_mul_f32_e32 v1, v2, v1
	v_fmac_f32_e32 v8, v2, v0
	v_fma_f32 v2, v0, v3, -v1
	v_cvt_f64_f32_e32 v[0:1], v8
	v_cvt_f64_f32_e32 v[2:3], v2
	v_mul_f64 v[0:1], v[0:1], s[0:1]
	v_mul_f64 v[2:3], v[2:3], s[0:1]
	v_cvt_f32_f64_e32 v0, v[0:1]
	v_cvt_f32_f64_e32 v1, v[2:3]
	global_store_dwordx2 v[4:5], v[0:1], off
	global_load_dwordx2 v[8:9], v[6:7], off offset:1312
	v_add_nc_u32_e32 v0, 0x800, v95
	v_add_co_u32 v4, vcc_lo, v4, s3
	v_add_co_ci_u32_e32 v5, vcc_lo, s2, v5, vcc_lo
	ds_read2_b64 v[0:3], v0 offset0:164 offset1:248
	s_waitcnt vmcnt(0) lgkmcnt(0)
	v_mul_f32_e32 v12, v1, v9
	v_mul_f32_e32 v9, v0, v9
	v_fmac_f32_e32 v12, v0, v8
	v_fma_f32 v8, v8, v1, -v9
	v_cvt_f64_f32_e32 v[0:1], v12
	v_cvt_f64_f32_e32 v[8:9], v8
	v_mul_f64 v[0:1], v[0:1], s[0:1]
	v_mul_f64 v[8:9], v[8:9], s[0:1]
	v_cvt_f32_f64_e32 v0, v[0:1]
	v_cvt_f32_f64_e32 v1, v[8:9]
	global_store_dwordx2 v[4:5], v[0:1], off
	global_load_dwordx2 v[0:1], v[6:7], off offset:1984
	v_add_co_u32 v4, vcc_lo, v4, s3
	v_add_co_ci_u32_e32 v5, vcc_lo, s2, v5, vcc_lo
	s_waitcnt vmcnt(0)
	v_mul_f32_e32 v6, v3, v1
	v_mul_f32_e32 v1, v2, v1
	v_fmac_f32_e32 v6, v2, v0
	v_fma_f32 v2, v0, v3, -v1
	v_cvt_f64_f32_e32 v[0:1], v6
	v_cvt_f64_f32_e32 v[2:3], v2
	v_add_co_u32 v6, vcc_lo, 0x1000, v10
	v_add_co_ci_u32_e32 v7, vcc_lo, 0, v11, vcc_lo
	v_mul_f64 v[0:1], v[0:1], s[0:1]
	v_mul_f64 v[2:3], v[2:3], s[0:1]
	v_cvt_f32_f64_e32 v0, v[0:1]
	v_cvt_f32_f64_e32 v1, v[2:3]
	global_store_dwordx2 v[4:5], v[0:1], off
	global_load_dwordx2 v[8:9], v[6:7], off offset:608
	v_add_nc_u32_e32 v0, 0x1000, v95
	v_add_co_u32 v4, vcc_lo, v4, s3
	v_add_co_ci_u32_e32 v5, vcc_lo, s2, v5, vcc_lo
	ds_read2_b64 v[0:3], v0 offset0:76 offset1:160
	s_waitcnt vmcnt(0) lgkmcnt(0)
	v_mul_f32_e32 v12, v1, v9
	v_mul_f32_e32 v9, v0, v9
	v_fmac_f32_e32 v12, v0, v8
	v_fma_f32 v8, v8, v1, -v9
	v_cvt_f64_f32_e32 v[0:1], v12
	v_cvt_f64_f32_e32 v[8:9], v8
	v_mul_f64 v[0:1], v[0:1], s[0:1]
	v_mul_f64 v[8:9], v[8:9], s[0:1]
	v_cvt_f32_f64_e32 v0, v[0:1]
	v_cvt_f32_f64_e32 v1, v[8:9]
	global_store_dwordx2 v[4:5], v[0:1], off
	global_load_dwordx2 v[0:1], v[6:7], off offset:1280
	v_add_co_u32 v4, vcc_lo, v4, s3
	v_add_co_ci_u32_e32 v5, vcc_lo, s2, v5, vcc_lo
	s_waitcnt vmcnt(0)
	v_mul_f32_e32 v8, v3, v1
	v_mul_f32_e32 v1, v2, v1
	v_fmac_f32_e32 v8, v2, v0
	v_fma_f32 v2, v0, v3, -v1
	v_cvt_f64_f32_e32 v[0:1], v8
	v_cvt_f64_f32_e32 v[2:3], v2
	v_mul_f64 v[0:1], v[0:1], s[0:1]
	v_mul_f64 v[2:3], v[2:3], s[0:1]
	v_cvt_f32_f64_e32 v0, v[0:1]
	v_cvt_f32_f64_e32 v1, v[2:3]
	global_store_dwordx2 v[4:5], v[0:1], off
	global_load_dwordx2 v[6:7], v[6:7], off offset:1952
	v_add_nc_u32_e32 v0, 0x1400, v95
	v_add_co_u32 v4, vcc_lo, v4, s3
	v_add_co_ci_u32_e32 v5, vcc_lo, s2, v5, vcc_lo
	ds_read2_b64 v[0:3], v0 offset0:116 offset1:200
	s_waitcnt vmcnt(0) lgkmcnt(0)
	v_mul_f32_e32 v8, v1, v7
	v_mul_f32_e32 v7, v0, v7
	v_fmac_f32_e32 v8, v0, v6
	v_fma_f32 v6, v6, v1, -v7
	v_cvt_f64_f32_e32 v[0:1], v8
	v_cvt_f64_f32_e32 v[6:7], v6
	v_mul_f64 v[0:1], v[0:1], s[0:1]
	v_mul_f64 v[6:7], v[6:7], s[0:1]
	v_cvt_f32_f64_e32 v0, v[0:1]
	v_cvt_f32_f64_e32 v1, v[6:7]
	v_add_co_u32 v6, vcc_lo, 0x1800, v10
	v_add_co_ci_u32_e32 v7, vcc_lo, 0, v11, vcc_lo
	global_store_dwordx2 v[4:5], v[0:1], off
	global_load_dwordx2 v[0:1], v[6:7], off offset:576
	v_add_co_u32 v4, vcc_lo, v4, s3
	v_add_co_ci_u32_e32 v5, vcc_lo, s2, v5, vcc_lo
	s_waitcnt vmcnt(0)
	v_mul_f32_e32 v8, v3, v1
	v_mul_f32_e32 v1, v2, v1
	v_fmac_f32_e32 v8, v2, v0
	v_fma_f32 v2, v0, v3, -v1
	v_cvt_f64_f32_e32 v[0:1], v8
	v_cvt_f64_f32_e32 v[2:3], v2
	v_mul_f64 v[0:1], v[0:1], s[0:1]
	v_mul_f64 v[2:3], v[2:3], s[0:1]
	v_cvt_f32_f64_e32 v0, v[0:1]
	v_cvt_f32_f64_e32 v1, v[2:3]
	global_store_dwordx2 v[4:5], v[0:1], off
	global_load_dwordx2 v[8:9], v[6:7], off offset:1248
	v_add_nc_u32_e32 v0, 0x1800, v95
	v_add_co_u32 v4, vcc_lo, v4, s3
	v_add_co_ci_u32_e32 v5, vcc_lo, s2, v5, vcc_lo
	ds_read2_b64 v[0:3], v0 offset0:156 offset1:240
	s_waitcnt vmcnt(0) lgkmcnt(0)
	v_mul_f32_e32 v12, v1, v9
	v_mul_f32_e32 v9, v0, v9
	v_fmac_f32_e32 v12, v0, v8
	v_fma_f32 v8, v8, v1, -v9
	v_cvt_f64_f32_e32 v[0:1], v12
	v_cvt_f64_f32_e32 v[8:9], v8
	v_mul_f64 v[0:1], v[0:1], s[0:1]
	v_mul_f64 v[8:9], v[8:9], s[0:1]
	v_cvt_f32_f64_e32 v0, v[0:1]
	v_cvt_f32_f64_e32 v1, v[8:9]
	global_store_dwordx2 v[4:5], v[0:1], off
	global_load_dwordx2 v[0:1], v[6:7], off offset:1920
	v_add_co_u32 v4, vcc_lo, v4, s3
	v_add_co_ci_u32_e32 v5, vcc_lo, s2, v5, vcc_lo
	s_waitcnt vmcnt(0)
	v_mul_f32_e32 v6, v3, v1
	v_mul_f32_e32 v1, v2, v1
	v_fmac_f32_e32 v6, v2, v0
	v_fma_f32 v2, v0, v3, -v1
	v_cvt_f64_f32_e32 v[0:1], v6
	v_cvt_f64_f32_e32 v[2:3], v2
	v_add_co_u32 v6, vcc_lo, 0x2000, v10
	v_add_co_ci_u32_e32 v7, vcc_lo, 0, v11, vcc_lo
	v_mul_f64 v[0:1], v[0:1], s[0:1]
	v_mul_f64 v[2:3], v[2:3], s[0:1]
	v_cvt_f32_f64_e32 v0, v[0:1]
	v_cvt_f32_f64_e32 v1, v[2:3]
	global_store_dwordx2 v[4:5], v[0:1], off
	global_load_dwordx2 v[8:9], v[6:7], off offset:544
	v_add_nc_u32_e32 v0, 0x2000, v95
	v_add_co_u32 v4, vcc_lo, v4, s3
	v_add_co_ci_u32_e32 v5, vcc_lo, s2, v5, vcc_lo
	ds_read2_b64 v[0:3], v0 offset0:68 offset1:152
	s_waitcnt vmcnt(0) lgkmcnt(0)
	v_mul_f32_e32 v12, v1, v9
	v_mul_f32_e32 v9, v0, v9
	v_fmac_f32_e32 v12, v0, v8
	v_fma_f32 v8, v8, v1, -v9
	v_cvt_f64_f32_e32 v[0:1], v12
	v_cvt_f64_f32_e32 v[8:9], v8
	v_mul_f64 v[0:1], v[0:1], s[0:1]
	v_mul_f64 v[8:9], v[8:9], s[0:1]
	v_cvt_f32_f64_e32 v0, v[0:1]
	v_cvt_f32_f64_e32 v1, v[8:9]
	global_store_dwordx2 v[4:5], v[0:1], off
	global_load_dwordx2 v[0:1], v[6:7], off offset:1216
	v_add_co_u32 v4, vcc_lo, v4, s3
	v_add_co_ci_u32_e32 v5, vcc_lo, s2, v5, vcc_lo
	s_waitcnt vmcnt(0)
	v_mul_f32_e32 v8, v3, v1
	v_mul_f32_e32 v1, v2, v1
	v_fmac_f32_e32 v8, v2, v0
	v_fma_f32 v2, v0, v3, -v1
	v_cvt_f64_f32_e32 v[0:1], v8
	v_cvt_f64_f32_e32 v[2:3], v2
	v_mul_f64 v[0:1], v[0:1], s[0:1]
	v_mul_f64 v[2:3], v[2:3], s[0:1]
	v_cvt_f32_f64_e32 v0, v[0:1]
	v_cvt_f32_f64_e32 v1, v[2:3]
	global_store_dwordx2 v[4:5], v[0:1], off
	global_load_dwordx2 v[6:7], v[6:7], off offset:1888
	v_add_nc_u32_e32 v0, 0x2400, v95
	v_add_co_u32 v4, vcc_lo, v4, s3
	v_add_co_ci_u32_e32 v5, vcc_lo, s2, v5, vcc_lo
	ds_read2_b64 v[0:3], v0 offset0:108 offset1:192
	s_waitcnt vmcnt(0) lgkmcnt(0)
	v_mul_f32_e32 v8, v1, v7
	v_mul_f32_e32 v7, v0, v7
	v_fmac_f32_e32 v8, v0, v6
	v_fma_f32 v6, v6, v1, -v7
	v_cvt_f64_f32_e32 v[0:1], v8
	v_cvt_f64_f32_e32 v[6:7], v6
	v_mul_f64 v[0:1], v[0:1], s[0:1]
	v_mul_f64 v[6:7], v[6:7], s[0:1]
	v_cvt_f32_f64_e32 v0, v[0:1]
	v_cvt_f32_f64_e32 v1, v[6:7]
	v_add_co_u32 v6, vcc_lo, 0x2800, v10
	v_add_co_ci_u32_e32 v7, vcc_lo, 0, v11, vcc_lo
	global_store_dwordx2 v[4:5], v[0:1], off
	global_load_dwordx2 v[0:1], v[6:7], off offset:512
	s_waitcnt vmcnt(0)
	v_mul_f32_e32 v6, v3, v1
	v_mul_f32_e32 v1, v2, v1
	v_fmac_f32_e32 v6, v2, v0
	v_fma_f32 v2, v0, v3, -v1
	v_cvt_f64_f32_e32 v[0:1], v6
	v_cvt_f64_f32_e32 v[2:3], v2
	v_mul_f64 v[0:1], v[0:1], s[0:1]
	v_mul_f64 v[2:3], v[2:3], s[0:1]
	v_cvt_f32_f64_e32 v0, v[0:1]
	v_cvt_f32_f64_e32 v1, v[2:3]
	v_add_co_u32 v2, vcc_lo, v4, s3
	v_add_co_ci_u32_e32 v3, vcc_lo, s2, v5, vcc_lo
	global_store_dwordx2 v[2:3], v[0:1], off
.LBB0_23:
	s_endpgm
	.section	.rodata,"a",@progbits
	.p2align	6, 0x0
	.amdhsa_kernel bluestein_single_back_len1428_dim1_sp_op_CI_CI
		.amdhsa_group_segment_fixed_size 11424
		.amdhsa_private_segment_fixed_size 0
		.amdhsa_kernarg_size 104
		.amdhsa_user_sgpr_count 6
		.amdhsa_user_sgpr_private_segment_buffer 1
		.amdhsa_user_sgpr_dispatch_ptr 0
		.amdhsa_user_sgpr_queue_ptr 0
		.amdhsa_user_sgpr_kernarg_segment_ptr 1
		.amdhsa_user_sgpr_dispatch_id 0
		.amdhsa_user_sgpr_flat_scratch_init 0
		.amdhsa_user_sgpr_private_segment_size 0
		.amdhsa_wavefront_size32 1
		.amdhsa_uses_dynamic_stack 0
		.amdhsa_system_sgpr_private_segment_wavefront_offset 0
		.amdhsa_system_sgpr_workgroup_id_x 1
		.amdhsa_system_sgpr_workgroup_id_y 0
		.amdhsa_system_sgpr_workgroup_id_z 0
		.amdhsa_system_sgpr_workgroup_info 0
		.amdhsa_system_vgpr_workitem_id 0
		.amdhsa_next_free_vgpr 207
		.amdhsa_next_free_sgpr 16
		.amdhsa_reserve_vcc 1
		.amdhsa_reserve_flat_scratch 0
		.amdhsa_float_round_mode_32 0
		.amdhsa_float_round_mode_16_64 0
		.amdhsa_float_denorm_mode_32 3
		.amdhsa_float_denorm_mode_16_64 3
		.amdhsa_dx10_clamp 1
		.amdhsa_ieee_mode 1
		.amdhsa_fp16_overflow 0
		.amdhsa_workgroup_processor_mode 1
		.amdhsa_memory_ordered 1
		.amdhsa_forward_progress 0
		.amdhsa_shared_vgpr_count 0
		.amdhsa_exception_fp_ieee_invalid_op 0
		.amdhsa_exception_fp_denorm_src 0
		.amdhsa_exception_fp_ieee_div_zero 0
		.amdhsa_exception_fp_ieee_overflow 0
		.amdhsa_exception_fp_ieee_underflow 0
		.amdhsa_exception_fp_ieee_inexact 0
		.amdhsa_exception_int_div_zero 0
	.end_amdhsa_kernel
	.text
.Lfunc_end0:
	.size	bluestein_single_back_len1428_dim1_sp_op_CI_CI, .Lfunc_end0-bluestein_single_back_len1428_dim1_sp_op_CI_CI
                                        ; -- End function
	.section	.AMDGPU.csdata,"",@progbits
; Kernel info:
; codeLenInByte = 20704
; NumSgprs: 18
; NumVgprs: 207
; ScratchSize: 0
; MemoryBound: 0
; FloatMode: 240
; IeeeMode: 1
; LDSByteSize: 11424 bytes/workgroup (compile time only)
; SGPRBlocks: 2
; VGPRBlocks: 25
; NumSGPRsForWavesPerEU: 18
; NumVGPRsForWavesPerEU: 207
; Occupancy: 4
; WaveLimiterHint : 1
; COMPUTE_PGM_RSRC2:SCRATCH_EN: 0
; COMPUTE_PGM_RSRC2:USER_SGPR: 6
; COMPUTE_PGM_RSRC2:TRAP_HANDLER: 0
; COMPUTE_PGM_RSRC2:TGID_X_EN: 1
; COMPUTE_PGM_RSRC2:TGID_Y_EN: 0
; COMPUTE_PGM_RSRC2:TGID_Z_EN: 0
; COMPUTE_PGM_RSRC2:TIDIG_COMP_CNT: 0
	.text
	.p2alignl 6, 3214868480
	.fill 48, 4, 3214868480
	.type	__hip_cuid_c956b4f423d1fa6b,@object ; @__hip_cuid_c956b4f423d1fa6b
	.section	.bss,"aw",@nobits
	.globl	__hip_cuid_c956b4f423d1fa6b
__hip_cuid_c956b4f423d1fa6b:
	.byte	0                               ; 0x0
	.size	__hip_cuid_c956b4f423d1fa6b, 1

	.ident	"AMD clang version 19.0.0git (https://github.com/RadeonOpenCompute/llvm-project roc-6.4.0 25133 c7fe45cf4b819c5991fe208aaa96edf142730f1d)"
	.section	".note.GNU-stack","",@progbits
	.addrsig
	.addrsig_sym __hip_cuid_c956b4f423d1fa6b
	.amdgpu_metadata
---
amdhsa.kernels:
  - .args:
      - .actual_access:  read_only
        .address_space:  global
        .offset:         0
        .size:           8
        .value_kind:     global_buffer
      - .actual_access:  read_only
        .address_space:  global
        .offset:         8
        .size:           8
        .value_kind:     global_buffer
      - .actual_access:  read_only
        .address_space:  global
        .offset:         16
        .size:           8
        .value_kind:     global_buffer
      - .actual_access:  read_only
        .address_space:  global
        .offset:         24
        .size:           8
        .value_kind:     global_buffer
      - .actual_access:  read_only
        .address_space:  global
        .offset:         32
        .size:           8
        .value_kind:     global_buffer
      - .offset:         40
        .size:           8
        .value_kind:     by_value
      - .address_space:  global
        .offset:         48
        .size:           8
        .value_kind:     global_buffer
      - .address_space:  global
        .offset:         56
        .size:           8
        .value_kind:     global_buffer
      - .address_space:  global
        .offset:         64
        .size:           8
        .value_kind:     global_buffer
      - .address_space:  global
        .offset:         72
        .size:           8
        .value_kind:     global_buffer
      - .offset:         80
        .size:           4
        .value_kind:     by_value
      - .address_space:  global
        .offset:         88
        .size:           8
        .value_kind:     global_buffer
      - .address_space:  global
        .offset:         96
        .size:           8
        .value_kind:     global_buffer
    .group_segment_fixed_size: 11424
    .kernarg_segment_align: 8
    .kernarg_segment_size: 104
    .language:       OpenCL C
    .language_version:
      - 2
      - 0
    .max_flat_workgroup_size: 119
    .name:           bluestein_single_back_len1428_dim1_sp_op_CI_CI
    .private_segment_fixed_size: 0
    .sgpr_count:     18
    .sgpr_spill_count: 0
    .symbol:         bluestein_single_back_len1428_dim1_sp_op_CI_CI.kd
    .uniform_work_group_size: 1
    .uses_dynamic_stack: false
    .vgpr_count:     207
    .vgpr_spill_count: 0
    .wavefront_size: 32
    .workgroup_processor_mode: 1
amdhsa.target:   amdgcn-amd-amdhsa--gfx1030
amdhsa.version:
  - 1
  - 2
...

	.end_amdgpu_metadata
